;; amdgpu-corpus repo=ROCm/aiter kind=harvested arch=n/a opt=n/a

/root/src/amdgpu-assembly/repos/ROCm__aiter/hsa/gfx950/fmoe_2stages/fmoe_stage1_bf16_pertokenFp8_doweight_g1u1_64x64_2tg_pf2.co:	file format elf64-amdgpu

Disassembly of section .text:

0000000000002a00 <_ZN5aiter56fmoe_stage1_bf16_pertokenFp8_doweight_g1u1_64x64_2tg_pf2E>:
	s_and_b32 s1, s1, 0xffff                                   // 000000002A00: 8601FF01 0000FFFF
	s_load_dwordx2 s[8:9], s[0:1], 0x0                         // 000000002A08: C0060200 00000000
	s_load_dwordx2 s[20:21], s[0:1], 0x10                      // 000000002A10: C0060500 00000010
	s_load_dwordx2 s[24:25], s[0:1], 0x20                      // 000000002A18: C0060600 00000020
	s_load_dwordx2 s[48:49], s[0:1], 0x30                      // 000000002A20: C0060C00 00000030
	s_load_dwordx2 s[28:29], s[0:1], 0x40                      // 000000002A28: C0060700 00000040
	s_load_dwordx2 s[32:33], s[0:1], 0x50                      // 000000002A30: C0060800 00000050
	s_load_dwordx2 s[36:37], s[0:1], 0x60                      // 000000002A38: C0060900 00000060
	s_load_dwordx2 s[12:13], s[0:1], 0x70                      // 000000002A40: C0060300 00000070
	s_load_dwordx2 s[44:45], s[0:1], 0x80                      // 000000002A48: C0060B00 00000080
	s_mov_b32 s89, 0                                           // 000000002A50: BED90080
	s_load_dword s64, s[0:1], 0x90                             // 000000002A54: C0021000 00000090
	s_load_dword s65, s[0:1], 0xa0                             // 000000002A5C: C0021040 000000A0
	s_load_dword s66, s[0:1], 0xb0                             // 000000002A64: C0021080 000000B0
	s_load_dword s67, s[0:1], 0xc0                             // 000000002A6C: C00210C0 000000C0
	s_load_dword s68, s[0:1], 0xd0                             // 000000002A74: C0021100 000000D0
	s_load_dword s69, s[0:1], 0xe0                             // 000000002A7C: C0021140 000000E0
	s_load_dword s71, s[0:1], 0xf0                             // 000000002A84: C00211C0 000000F0
	s_load_dword s72, s[0:1], 0x100                            // 000000002A8C: C0021200 00000100
	s_load_dword s74, s[0:1], 0x110                            // 000000002A94: C0021280 00000110
	s_load_dword s76, s[0:1], 0x120                            // 000000002A9C: C0021300 00000120
	s_load_dword s56, s[0:1], 0x130                            // 000000002AA4: C0020E00 00000130
	s_load_dword s88, s[0:1], 0x140                            // 000000002AAC: C0021600 00000140
	s_load_dword s89, s[0:1], 0x150                            // 000000002AB4: C0021640 00000150
	s_load_dwordx2 s[40:41], s[0:1], 0x160                     // 000000002ABC: C0060A00 00000160
	v_lshrrev_b32_e32 v1, 10, v0                               // 000000002AC4: 2002008A
	v_lshrrev_b32_e32 v2, 10, v1                               // 000000002AC8: 2004028A
	v_and_b32_e32 v2, 0x3ff, v2                                // 000000002ACC: 260404FF 000003FF
	v_and_b32_e32 v1, 0x3ff, v1                                // 000000002AD4: 260202FF 000003FF
	v_and_b32_e32 v0, 0x3ff, v0                                // 000000002ADC: 260000FF 000003FF
	v_lshrrev_b32_e32 v3, 6, v0                                // 000000002AE4: 20060086
	v_and_b32_e32 v0, 63, v0                                   // 000000002AE8: 260000BF
	s_mov_b32 s2, s2                                           // 000000002AEC: BE820002
	s_mov_b32 s3, s3                                           // 000000002AF0: BE830003
	s_mov_b32 s4, s4                                           // 000000002AF4: BE840004
	v_readfirstlane_b32 s7, v3                                 // 000000002AF8: 7E0E0503
	s_waitcnt lgkmcnt(0)                                       // 000000002AFC: BF8CC07F
	s_and_b32 s49, s49, 0xffff                                 // 000000002B00: 8631FF31 0000FFFF
	s_load_dword s48, s[48:49], 0x0                            // 000000002B08: C0020C18 00000000
	s_and_b32 s45, s45, 0xffff                                 // 000000002B10: 862DFF2D 0000FFFF
	s_and_b32 s9, s9, 0xffff                                   // 000000002B18: 8609FF09 0000FFFF
	s_mul_i32 s60, s66, s68                                    // 000000002B20: 923C4442
	s_mul_i32 s61, s66, 4                                      // 000000002B24: 923D8442
	s_mov_b32 s22, s60                                         // 000000002B28: BE96003C
	s_mov_b32 s26, -16                                         // 000000002B2C: BE9A00D0
	s_mov_b32 s30, s61                                         // 000000002B30: BE9E003D
	s_mov_b32 s14, 0x100                                       // 000000002B34: BE8E00FF 00000100
	s_mov_b32 s38, -16                                         // 000000002B3C: BEA600D0
	s_mov_b32 s10, -16                                         // 000000002B40: BE8A00D0
	s_mov_b32 s34, 0x100                                       // 000000002B44: BEA200FF 00000100
	s_mov_b32 s23, 0x20000                                     // 000000002B4C: BE9700FF 00020000
	s_mov_b32 s27, 0x20000                                     // 000000002B54: BE9B00FF 00020000
	s_mov_b32 s31, 0x20000                                     // 000000002B5C: BE9F00FF 00020000
	s_mov_b32 s35, 0x20000                                     // 000000002B64: BEA300FF 00020000
	s_mov_b32 s15, 0x20000                                     // 000000002B6C: BE8F00FF 00020000
	s_mov_b32 s39, 0x20000                                     // 000000002B74: BEA700FF 00020000
	s_mov_b32 s11, 0x20000                                     // 000000002B7C: BE8B00FF 00020000
	s_and_b32 s21, s21, 0xffff                                 // 000000002B84: 8615FF15 0000FFFF
	s_and_b32 s25, s25, 0xffff                                 // 000000002B8C: 8619FF19 0000FFFF
	s_and_b32 s29, s29, 0xffff                                 // 000000002B94: 861DFF1D 0000FFFF
	s_and_b32 s33, s33, 0xffff                                 // 000000002B9C: 8621FF21 0000FFFF
	s_and_b32 s13, s13, 0xffff                                 // 000000002BA4: 860DFF0D 0000FFFF
	s_and_b32 s37, s37, 0xffff                                 // 000000002BAC: 8625FF25 0000FFFF
	s_or_b32 s21, s21, 0x40000                                 // 000000002BB4: 8715FF15 00040000
	s_or_b32 s25, s25, 0x40000                                 // 000000002BBC: 8719FF19 00040000
	s_or_b32 s29, s29, 0x40000                                 // 000000002BC4: 871DFF1D 00040000
	s_or_b32 s33, s33, 0x40000                                 // 000000002BCC: 8721FF21 00040000
	s_or_b32 s13, s13, 0x40000                                 // 000000002BD4: 870DFF0D 00040000
	s_or_b32 s37, s37, 0x40000                                 // 000000002BDC: 8725FF25 00040000
	s_mov_b32 s42, -16                                         // 000000002BE4: BEAA00D0
	s_mov_b32 s43, 0x20000                                     // 000000002BE8: BEAB00FF 00020000
	s_and_b32 s41, s41, 0xffff                                 // 000000002BF0: 8629FF29 0000FFFF
	s_or_b32 s41, s41, 0x40000                                 // 000000002BF8: 8729FF29 00040000
	v_accvgpr_write_b32 a79, 0                                 // 000000002C00: D3D9404F 18000080
	v_mov_b32_e32 v91, 0                                       // 000000002C08: 7EB60280
	s_waitcnt lgkmcnt(0)                                       // 000000002C0C: BF8CC07F
	s_mul_i32 s60, s3, 64                                      // 000000002C10: 923CC003
	s_cmp_lt_i32 s60, s48                                      // 000000002C14: BF04303C
	s_cbranch_scc0 label_1270                                  // 000000002C18: BF8411E6
	s_mov_b32 s80, 0                                           // 000000002C1C: BED00080
	s_lshr_b32 s81, s64, s88                                   // 000000002C20: 8F515840
	s_mul_i32 s60, s3, 4                                       // 000000002C24: 923C8403
	s_add_u32 s44, s60, s44                                    // 000000002C28: 802C2C3C
	s_addc_u32 s45, 0, s45                                     // 000000002C2C: 822D2D80
	s_load_dword s5, s[44:45], 0x0                             // 000000002C30: C0020156 00000000
	s_mul_i32 s60, s3, 64                                      // 000000002C38: 923CC003
	s_mul_i32 s60, 4, s60                                      // 000000002C3C: 923C3C84
	s_add_u32 s12, s60, s12                                    // 000000002C40: 800C0C3C
	s_addc_u32 s13, 0, s13                                     // 000000002C44: 820D0D80
	v_and_b32_e32 v4, 15, v0                                   // 000000002C48: 2608008F
	v_lshlrev_b32_e32 v4, 2, v4                                // 000000002C4C: 24080882
	buffer_load_dword v28, v4, s[12:15], 0 offen               // 000000002C50: E0501000 80031C04
	v_add_u32_e32 v4, 64, v4                                   // 000000002C58: 680808C0
	buffer_load_dword v29, v4, s[12:15], 0 offen               // 000000002C5C: E0501000 80031D04
	v_add_u32_e32 v4, 64, v4                                   // 000000002C64: 680808C0
	buffer_load_dword v30, v4, s[12:15], 0 offen               // 000000002C68: E0501000 80031E04
	v_add_u32_e32 v4, 64, v4                                   // 000000002C70: 680808C0
	buffer_load_dword v31, v4, s[12:15], 0 offen               // 000000002C74: E0501000 80031F04
	v_add_u32_e32 v4, 64, v4                                   // 000000002C7C: 680808C0
	s_mul_i32 s60, 4, s7                                       // 000000002C80: 923C0784
	v_lshlrev_b32_e32 v4, 4, v0                                // 000000002C84: 24080084
	v_add_u32_e32 v4, s60, v4                                  // 000000002C88: 6808083C
	buffer_load_dword v3, v4, s[12:15], 0 offen                // 000000002C8C: E0501000 80030304
	v_mov_b32_e32 v56, 0                                       // 000000002C94: 7E700280
	v_mov_b32_e32 v72, 0                                       // 000000002C98: 7E900280
	v_mov_b32_e32 v57, 0                                       // 000000002C9C: 7E720280
	v_mov_b32_e32 v73, 0                                       // 000000002CA0: 7E920280
	v_mov_b32_e32 v58, 0                                       // 000000002CA4: 7E740280
	v_mov_b32_e32 v74, 0                                       // 000000002CA8: 7E940280
	v_mov_b32_e32 v59, 0                                       // 000000002CAC: 7E760280
	v_mov_b32_e32 v75, 0                                       // 000000002CB0: 7E960280
	v_mov_b32_e32 v60, 0                                       // 000000002CB4: 7E780280
	v_mov_b32_e32 v76, 0                                       // 000000002CB8: 7E980280
	v_mov_b32_e32 v61, 0                                       // 000000002CBC: 7E7A0280
	v_mov_b32_e32 v77, 0                                       // 000000002CC0: 7E9A0280
	v_mov_b32_e32 v62, 0                                       // 000000002CC4: 7E7C0280
	v_mov_b32_e32 v78, 0                                       // 000000002CC8: 7E9C0280
	v_mov_b32_e32 v63, 0                                       // 000000002CCC: 7E7E0280
	v_mov_b32_e32 v79, 0                                       // 000000002CD0: 7E9E0280
	v_mov_b32_e32 v64, 0                                       // 000000002CD4: 7E800280
	v_mov_b32_e32 v80, 0                                       // 000000002CD8: 7EA00280
	v_mov_b32_e32 v65, 0                                       // 000000002CDC: 7E820280
	v_mov_b32_e32 v81, 0                                       // 000000002CE0: 7EA20280
	v_mov_b32_e32 v66, 0                                       // 000000002CE4: 7E840280
	v_mov_b32_e32 v82, 0                                       // 000000002CE8: 7EA40280
	v_mov_b32_e32 v67, 0                                       // 000000002CEC: 7E860280
	v_mov_b32_e32 v83, 0                                       // 000000002CF0: 7EA60280
	v_mov_b32_e32 v68, 0                                       // 000000002CF4: 7E880280
	v_mov_b32_e32 v84, 0                                       // 000000002CF8: 7EA80280
	v_mov_b32_e32 v69, 0                                       // 000000002CFC: 7E8A0280
	v_mov_b32_e32 v85, 0                                       // 000000002D00: 7EAA0280
	v_mov_b32_e32 v70, 0                                       // 000000002D04: 7E8C0280
	v_mov_b32_e32 v86, 0                                       // 000000002D08: 7EAC0280
	v_mov_b32_e32 v71, 0                                       // 000000002D0C: 7E8E0280
	v_mov_b32_e32 v87, 0                                       // 000000002D10: 7EAE0280
	s_mul_i32 s60, s2, 0x80                                    // 000000002D14: 923CFF02 00000080
	s_cmp_eq_u32 s88, 0                                        // 000000002D1C: BF068058
	s_cselect_b32 s61, 1, 2                                    // 000000002D20: 853D8281
	s_mul_i32 s60, s60, s61                                    // 000000002D24: 923C3D3C
	s_mov_b32 s90, s8                                          // 000000002D28: BEDA0008
	s_mov_b32 s91, s9                                          // 000000002D2C: BEDB0009
	s_add_u32 s8, s60, s8                                      // 000000002D30: 8008083C
	s_addc_u32 s9, 0, s9                                       // 000000002D34: 82090980
	v_lshrrev_b32_e32 v4, 4, v0                                // 000000002D38: 20080084
	v_mul_lo_u32 v20, 34, v4                                   // 000000002D3C: D2850014 000208A2
	v_and_b32_e32 v4, 15, v0                                   // 000000002D44: 2608008F
	v_mul_lo_u32 v5, 2, v4                                     // 000000002D48: D2850005 00020882
	v_add_u32_e32 v20, v5, v20                                 // 000000002D50: 68282905
	s_mul_i32 s60, s7, 0x88                                    // 000000002D54: 923CFF07 00000088
	v_add_u32_e32 v20, s60, v20                                // 000000002D5C: 6828283C
	v_lshlrev_b32_e32 v20, 2, v20                              // 000000002D60: 24282882
	v_and_b32_e32 v4, 31, v0                                   // 000000002D64: 2608009F
	v_lshrrev_b32_e32 v4, 1, v4                                // 000000002D68: 20080881
	v_mul_lo_u32 v21, 34, v4                                   // 000000002D6C: D2850015 000208A2
	v_lshrrev_b32_e32 v4, 5, v0                                // 000000002D74: 20080085
	v_mul_lo_u32 v4, 8, v4                                     // 000000002D78: D2850004 00020888
	v_add_u32_e32 v21, v21, v4                                 // 000000002D80: 682A0915
	v_and_b32_e32 v5, 1, v0                                    // 000000002D84: 260A0081
	v_add_u32_e32 v21, v5, v21                                 // 000000002D88: 682A2B05
	s_mul_i32 s60, s7, 2                                       // 000000002D8C: 923C8207
	v_add_u32_e32 v21, s60, v21                                // 000000002D90: 682A2A3C
	v_lshlrev_b32_e32 v21, 2, v21                              // 000000002D94: 242A2A82
	s_mul_i32 s60, s7, 0x820                                   // 000000002D98: 923CFF07 00000820
	s_add_u32 s48, 0, s60                                      // 000000002DA0: 80303C80
	s_add_u32 s49, 0x2080, s48                                 // 000000002DA4: 803130FF 00002080
	v_lshrrev_b32_e32 v4, 4, v0                                // 000000002DAC: 20080084
	v_lshlrev_b32_e32 v5, 2, v4                                // 000000002DB0: 240A0882
	v_and_b32_e32 v4, 15, v0                                   // 000000002DB4: 2608008F
	v_lshrrev_b32_e32 v6, 2, v4                                // 000000002DB8: 200C0882
	v_lshlrev_b32_e32 v6, 5, v6                                // 000000002DBC: 240C0C85
	v_add_u32_e32 v5, v6, v5                                   // 000000002DC0: 680A0B06
	v_and_b32_e32 v4, 3, v0                                    // 000000002DC4: 26080083
	v_mul_u32_u24_e32 v6, 0x208, v4                            // 000000002DC8: 100C08FF 00000208
	v_add_u32_e32 v5, v6, v5                                   // 000000002DD0: 680A0B06
	v_lshlrev_b32_e32 v2, 2, v5                                // 000000002DD4: 24040A82
	s_waitcnt lgkmcnt(0)                                       // 000000002DD8: BF8CC07F
	s_mul_i32 s60, s2, 64                                      // 000000002DDC: 923CC002
	s_mul_i32 s60, s60, s69                                    // 000000002DE0: 923C453C
	s_mul_i32 s61, s5, s72                                     // 000000002DE4: 923D4805
	s_add_u32 s60, s61, s60                                    // 000000002DE8: 803C3C3D
	s_add_u32 s24, s60, s24                                    // 000000002DEC: 8018183C
	s_addc_u32 s25, 0, s25                                     // 000000002DF0: 82191980
	s_lshr_b32 s60, s64, s88                                   // 000000002DF4: 8F3C5840
	s_mul_i32 s60, s4, s60                                     // 000000002DF8: 923C3C04
	s_lshr_b32 s60, s60, 7                                     // 000000002DFC: 8F3C873C
	s_mul_i32 s60, s60, 0x800                                  // 000000002E00: 923CFF3C 00000800
	s_add_u32 s24, s60, s24                                    // 000000002E08: 8018183C
	s_addc_u32 s25, 0, s25                                     // 000000002E0C: 82191980
	s_lshr_b32 s60, s69, s88                                   // 000000002E10: 8F3C5845
	s_mul_i32 s60, s4, s60                                     // 000000002E14: 923C3C04
	s_add_u32 s20, s60, s20                                    // 000000002E18: 8014143C
	s_addc_u32 s21, 0, s21                                     // 000000002E1C: 82151580
	s_mul_i32 s60, s7, 16                                      // 000000002E20: 923C9007
	s_mul_i32 s60, s60, s69                                    // 000000002E24: 923C453C
	v_lshlrev_b32_e32 v52, 4, v0                               // 000000002E28: 24680084
	v_add_u32_e32 v52, s60, v52                                // 000000002E2C: 6868683C
	s_mul_i32 s60, 64, s69                                     // 000000002E30: 923C45C0
	s_mov_b32 s84, s24                                         // 000000002E34: BED40018
	s_mov_b32 s85, s25                                         // 000000002E38: BED50019
	s_mov_b32 s86, s26                                         // 000000002E3C: BED6001A
	s_mov_b32 s87, s27                                         // 000000002E40: BED7001B
	s_mul_i32 s60, s69, s65                                    // 000000002E44: 923C4145
	s_add_u32 s84, s60, s84                                    // 000000002E48: 8054543C
	s_addc_u32 s85, 0, s85                                     // 000000002E4C: 82555580
	v_lshrrev_b32_e32 v4, 4, v0                                // 000000002E50: 20080084
	v_lshlrev_b32_e32 v5, 2, v4                                // 000000002E54: 240A0882
	v_and_b32_e32 v4, 15, v0                                   // 000000002E58: 2608008F
	v_lshrrev_b32_e32 v6, 2, v4                                // 000000002E5C: 200C0882
	v_lshlrev_b32_e32 v6, 6, v6                                // 000000002E60: 240C0C86
	v_add_u32_e32 v5, v6, v5                                   // 000000002E64: 680A0B06
	v_and_b32_e32 v4, 3, v0                                    // 000000002E68: 26080083
	v_add_u32_e32 v5, v4, v5                                   // 000000002E6C: 680A0B04
	v_lshlrev_b32_e32 v22, 2, v5                               // 000000002E70: 242C0A82
	s_mul_i32 s60, s7, 16                                      // 000000002E74: 923C9007
	s_mul_i32 s60, s60, 4                                      // 000000002E78: 923C843C
	v_add_u32_e32 v22, s60, v22                                // 000000002E7C: 682C2C3C
	s_mul_i32 s60, s2, 64                                      // 000000002E80: 923CC002
	s_mul_i32 s60, s60, 4                                      // 000000002E84: 923C843C
	s_mul_i32 s61, s5, s74                                     // 000000002E88: 923D4A05
	s_add_u32 s61, s61, s60                                    // 000000002E8C: 803D3C3D
	s_add_u32 s32, s61, s32                                    // 000000002E90: 8020203D
	s_addc_u32 s33, 0, s33                                     // 000000002E94: 82212180
	s_mov_b32 s57, 0x80                                        // 000000002E98: BEB900FF 00000080
	s_mov_b32 s58, 0x800                                       // 000000002EA0: BEBA00FF 00000800
	s_mov_b32 s83, s58                                         // 000000002EA8: BED3003A
	s_mov_b32 s52, 0x7060302                                   // 000000002EAC: BEB400FF 07060302
	s_mov_b32 s53, 0x400                                       // 000000002EB4: BEB500FF 00000400
	s_mov_b32 s54, 0x40100                                     // 000000002EBC: BEB600FF 00040100
	s_mov_b32 s55, 0x4020100                                   // 000000002EC4: BEB700FF 04020100
	s_mov_b32 s6, 0x3fb8aa3b                                   // 000000002ECC: BE8600FF 3FB8AA3B
	s_mov_b32 s78, 0xbd92220c                                  // 000000002ED4: BECE00FF BD92220C
	s_mov_b32 s79, 0xbd92220c                                  // 000000002EDC: BECF00FF BD92220C
	s_mov_b32 m0, s48                                          // 000000002EE4: BEFC0030
	v_mov_b32_e32 v1, 0xbfcc4231                               // 000000002EE8: 7E0202FF BFCC4231
	v_mov_b32_e32 v17, 0xffff0000                              // 000000002EF0: 7E2202FF FFFF0000
	v_mov_b32_e32 v18, 0x7fff0000                              // 000000002EF8: 7E2402FF 7FFF0000
	v_mov_b32_e32 v19, 0x7fff                                  // 000000002F00: 7E2602FF 00007FFF
	s_waitcnt vmcnt(0) expcnt(0) lgkmcnt(0)                    // 000000002F08: BF8C0000
	s_mul_i32 s60, s3, 64                                      // 000000002F0C: 923CC003
	s_mul_i32 s60, 4, s60                                      // 000000002F10: 923C3C84
	s_add_u32 s40, s60, s40                                    // 000000002F14: 8028283C
	s_addc_u32 s41, 0, s41                                     // 000000002F18: 82292980
	v_and_b32_e32 v4, 15, v0                                   // 000000002F1C: 2608008F
	v_lshlrev_b32_e32 v4, 2, v4                                // 000000002F20: 24080882
	buffer_load_dword v88, v4, s[40:43], 0 offen               // 000000002F24: E0501000 800A5804
	buffer_load_dword v89, v4, s[40:43], 0 offen offset:64     // 000000002F2C: E0501040 800A5904
	buffer_load_dword v90, v4, s[40:43], 0 offen offset:128    // 000000002F34: E0501080 800A5A04
	buffer_load_dword v91, v4, s[40:43], 0 offen offset:192    // 000000002F3C: E05010C0 800A5B04
	v_lshrrev_b32_e32 v4, 5, v0                                // 000000002F44: 20080085
	v_xor_b32_e32 v5, 1, v4                                    // 000000002F48: 2A0A0881
	v_readlane_b32 s82, v3, 0                                  // 000000002F4C: D2890052 00010103
	s_and_b32 s82, s82, 0xffffff                               // 000000002F54: 8652FF52 00FFFFFF
	v_mul_lo_u32 v6, v5, s82                                   // 000000002F5C: D2850006 0000A505
	v_readlane_b32 s82, v3, 1                                  // 000000002F64: D2890052 00010303
	s_and_b32 s82, s82, 0xffffff                               // 000000002F6C: 8652FF52 00FFFFFF
	v_mul_lo_u32 v7, v4, s82                                   // 000000002F74: D2850007 0000A504
	v_add_u32_e32 v44, v6, v7                                  // 000000002F7C: 68580F06
	v_mul_lo_u32 v44, v44, s68                                 // 000000002F80: D285002C 0000892C
	v_readlane_b32 s82, v3, 2                                  // 000000002F88: D2890052 00010503
	s_and_b32 s82, s82, 0xffffff                               // 000000002F90: 8652FF52 00FFFFFF
	v_mul_lo_u32 v6, v5, s82                                   // 000000002F98: D2850006 0000A505
	v_readlane_b32 s82, v3, 3                                  // 000000002FA0: D2890052 00010703
	s_and_b32 s82, s82, 0xffffff                               // 000000002FA8: 8652FF52 00FFFFFF
	v_mul_lo_u32 v7, v4, s82                                   // 000000002FB0: D2850007 0000A504
	v_add_u32_e32 v45, v6, v7                                  // 000000002FB8: 685A0F06
	v_mul_lo_u32 v45, v45, s68                                 // 000000002FBC: D285002D 0000892D
	v_readlane_b32 s82, v3, 4                                  // 000000002FC4: D2890052 00010903
	s_and_b32 s82, s82, 0xffffff                               // 000000002FCC: 8652FF52 00FFFFFF
	v_mul_lo_u32 v6, v5, s82                                   // 000000002FD4: D2850006 0000A505
	v_readlane_b32 s82, v3, 5                                  // 000000002FDC: D2890052 00010B03
	s_and_b32 s82, s82, 0xffffff                               // 000000002FE4: 8652FF52 00FFFFFF
	v_mul_lo_u32 v7, v4, s82                                   // 000000002FEC: D2850007 0000A504
	v_add_u32_e32 v46, v6, v7                                  // 000000002FF4: 685C0F06
	v_mul_lo_u32 v46, v46, s68                                 // 000000002FF8: D285002E 0000892E
	v_readlane_b32 s82, v3, 6                                  // 000000003000: D2890052 00010D03
	s_and_b32 s82, s82, 0xffffff                               // 000000003008: 8652FF52 00FFFFFF
	v_mul_lo_u32 v6, v5, s82                                   // 000000003010: D2850006 0000A505
	v_readlane_b32 s82, v3, 7                                  // 000000003018: D2890052 00010F03
	s_and_b32 s82, s82, 0xffffff                               // 000000003020: 8652FF52 00FFFFFF
	v_mul_lo_u32 v7, v4, s82                                   // 000000003028: D2850007 0000A504
	v_add_u32_e32 v47, v6, v7                                  // 000000003030: 685E0F06
	v_mul_lo_u32 v47, v47, s68                                 // 000000003034: D285002F 0000892F
	v_readlane_b32 s82, v3, 8                                  // 00000000303C: D2890052 00011103
	s_and_b32 s82, s82, 0xffffff                               // 000000003044: 8652FF52 00FFFFFF
	v_mul_lo_u32 v6, v5, s82                                   // 00000000304C: D2850006 0000A505
	v_readlane_b32 s82, v3, 9                                  // 000000003054: D2890052 00011303
	s_and_b32 s82, s82, 0xffffff                               // 00000000305C: 8652FF52 00FFFFFF
	v_mul_lo_u32 v7, v4, s82                                   // 000000003064: D2850007 0000A504
	v_add_u32_e32 v48, v6, v7                                  // 00000000306C: 68600F06
	v_mul_lo_u32 v48, v48, s68                                 // 000000003070: D2850030 00008930
	v_readlane_b32 s82, v3, 10                                 // 000000003078: D2890052 00011503
	s_and_b32 s82, s82, 0xffffff                               // 000000003080: 8652FF52 00FFFFFF
	v_mul_lo_u32 v6, v5, s82                                   // 000000003088: D2850006 0000A505
	v_readlane_b32 s82, v3, 11                                 // 000000003090: D2890052 00011703
	s_and_b32 s82, s82, 0xffffff                               // 000000003098: 8652FF52 00FFFFFF
	v_mul_lo_u32 v7, v4, s82                                   // 0000000030A0: D2850007 0000A504
	v_add_u32_e32 v49, v6, v7                                  // 0000000030A8: 68620F06
	v_mul_lo_u32 v49, v49, s68                                 // 0000000030AC: D2850031 00008931
	v_readlane_b32 s82, v3, 12                                 // 0000000030B4: D2890052 00011903
	s_and_b32 s82, s82, 0xffffff                               // 0000000030BC: 8652FF52 00FFFFFF
	v_mul_lo_u32 v6, v5, s82                                   // 0000000030C4: D2850006 0000A505
	v_readlane_b32 s82, v3, 13                                 // 0000000030CC: D2890052 00011B03
	s_and_b32 s82, s82, 0xffffff                               // 0000000030D4: 8652FF52 00FFFFFF
	v_mul_lo_u32 v7, v4, s82                                   // 0000000030DC: D2850007 0000A504
	v_add_u32_e32 v50, v6, v7                                  // 0000000030E4: 68640F06
	v_mul_lo_u32 v50, v50, s68                                 // 0000000030E8: D2850032 00008932
	v_readlane_b32 s82, v3, 14                                 // 0000000030F0: D2890052 00011D03
	s_and_b32 s82, s82, 0xffffff                               // 0000000030F8: 8652FF52 00FFFFFF
	v_mul_lo_u32 v6, v5, s82                                   // 000000003100: D2850006 0000A505
	v_readlane_b32 s82, v3, 15                                 // 000000003108: D2890052 00011F03
	s_and_b32 s82, s82, 0xffffff                               // 000000003110: 8652FF52 00FFFFFF
	v_mul_lo_u32 v7, v4, s82                                   // 000000003118: D2850007 0000A504
	v_add_u32_e32 v51, v6, v7                                  // 000000003120: 68660F06
	v_mul_lo_u32 v51, v51, s68                                 // 000000003124: D2850033 00008933
	v_and_b32_e32 v4, 31, v0                                   // 00000000312C: 2608009F
	v_lshlrev_b32_e32 v4, 2, v4                                // 000000003130: 24080882
	v_add_u32_e32 v44, v44, v4                                 // 000000003134: 6858092C
	v_add_u32_e32 v45, v45, v4                                 // 000000003138: 685A092D
	v_add_u32_e32 v46, v46, v4                                 // 00000000313C: 685C092E
	v_add_u32_e32 v47, v47, v4                                 // 000000003140: 685E092F
	v_add_u32_e32 v48, v48, v4                                 // 000000003144: 68600930
	v_add_u32_e32 v49, v49, v4                                 // 000000003148: 68620931
	v_add_u32_e32 v50, v50, v4                                 // 00000000314C: 68640932
	v_add_u32_e32 v51, v51, v4                                 // 000000003150: 68660933
	v_and_b32_e32 v28, 0xffffff, v28                           // 000000003154: 263838FF 00FFFFFF
	v_lshlrev_b32_e32 v28, 2, v28                              // 00000000315C: 24383882
	v_and_b32_e32 v29, 0xffffff, v29                           // 000000003160: 263A3AFF 00FFFFFF
	v_lshlrev_b32_e32 v29, 2, v29                              // 000000003168: 243A3A82
	v_and_b32_e32 v30, 0xffffff, v30                           // 00000000316C: 263C3CFF 00FFFFFF
	v_lshlrev_b32_e32 v30, 2, v30                              // 000000003174: 243C3C82
	v_and_b32_e32 v31, 0xffffff, v31                           // 000000003178: 263E3EFF 00FFFFFF
	v_lshlrev_b32_e32 v31, 2, v31                              // 000000003180: 243E3E82
	s_lshl_b32 s3, s66, 2                                      // 000000003184: 8E038242
	buffer_load_dword v32, v28, s[28:31], 0 offen              // 000000003188: E0501000 8007201C
	buffer_load_dword v33, v29, s[28:31], 0 offen              // 000000003190: E0501000 8007211D
	buffer_load_dword v34, v30, s[28:31], 0 offen              // 000000003198: E0501000 8007221E
	buffer_load_dword v35, v31, s[28:31], 0 offen              // 0000000031A0: E0501000 8007231F
	buffer_load_dword v24, v22, s[32:35], 0 offen              // 0000000031A8: E0501000 80081816
	s_mul_i32 s60, 4, s65                                      // 0000000031B0: 923C4184
	s_add_u32 s32, s60, s32                                    // 0000000031B4: 8020203C
	s_addc_u32 s33, 0, s33                                     // 0000000031B8: 82212180
	buffer_load_dword v26, v22, s[32:35], 0 offen              // 0000000031BC: E0501000 80081A16
	buffer_load_dword v44, s[20:23], 0 offen lds               // 0000000031C4: E0511000 8005002C
	s_add_u32 m0, 0x100, s48                                   // 0000000031CC: 807C30FF 00000100
	buffer_load_dword v45, s[20:23], 0 offen lds               // 0000000031D4: E0511000 8005002D
	s_add_u32 m0, 0x200, s48                                   // 0000000031DC: 807C30FF 00000200
	buffer_load_dword v46, s[20:23], 0 offen lds               // 0000000031E4: E0511000 8005002E
	s_add_u32 m0, 0x300, s48                                   // 0000000031EC: 807C30FF 00000300
	buffer_load_dword v47, s[20:23], 0 offen lds               // 0000000031F4: E0511000 8005002F
	s_add_u32 m0, 0x400, s48                                   // 0000000031FC: 807C30FF 00000400
	buffer_load_dword v48, s[20:23], 0 offen lds               // 000000003204: E0511000 80050030
	s_add_u32 m0, 0x500, s48                                   // 00000000320C: 807C30FF 00000500
	buffer_load_dword v49, s[20:23], 0 offen lds               // 000000003214: E0511000 80050031
	s_add_u32 m0, 0x600, s48                                   // 00000000321C: 807C30FF 00000600
	buffer_load_dword v50, s[20:23], 0 offen lds               // 000000003224: E0511000 80050032
	s_add_u32 m0, 0x700, s48                                   // 00000000322C: 807C30FF 00000700
	buffer_load_dword v51, s[20:23], 0 offen lds               // 000000003234: E0511000 80050033
	s_add_u32 m0, 0, s49                                       // 00000000323C: 807C3180
	s_add_u32 s20, s57, s20                                    // 000000003240: 80141439
	s_addc_u32 s21, 0, s21                                     // 000000003244: 82151580
	buffer_load_dword v44, s[20:23], 0 offen lds               // 000000003248: E0511000 8005002C
	s_add_u32 m0, 0x100, s49                                   // 000000003250: 807C31FF 00000100
	buffer_load_dword v45, s[20:23], 0 offen lds               // 000000003258: E0511000 8005002D
	s_add_u32 m0, 0x200, s49                                   // 000000003260: 807C31FF 00000200
	buffer_load_dword v46, s[20:23], 0 offen lds               // 000000003268: E0511000 8005002E
	s_add_u32 m0, 0x300, s49                                   // 000000003270: 807C31FF 00000300
	buffer_load_dword v47, s[20:23], 0 offen lds               // 000000003278: E0511000 8005002F
	s_add_u32 m0, 0x400, s49                                   // 000000003280: 807C31FF 00000400
	buffer_load_dword v48, s[20:23], 0 offen lds               // 000000003288: E0511000 80050030
	s_add_u32 m0, 0x500, s49                                   // 000000003290: 807C31FF 00000500
	buffer_load_dword v49, s[20:23], 0 offen lds               // 000000003298: E0511000 80050031
	s_add_u32 m0, 0x600, s49                                   // 0000000032A0: 807C31FF 00000600
	buffer_load_dword v50, s[20:23], 0 offen lds               // 0000000032A8: E0511000 80050032
	s_add_u32 m0, 0x700, s49                                   // 0000000032B0: 807C31FF 00000700
	buffer_load_dword v51, s[20:23], 0 offen lds               // 0000000032B8: E0511000 80050033
	s_add_u32 m0, 0, s48                                       // 0000000032C0: 807C3080
	s_add_u32 s20, s57, s20                                    // 0000000032C4: 80141439
	s_addc_u32 s21, 0, s21                                     // 0000000032C8: 82151580
	buffer_load_dwordx4 a[64:67], v52, s[24:27], 0 offen       // 0000000032CC: E05C1000 80864034
	buffer_load_dwordx4 a[68:71], v52, s[24:27], 0 offen offset:1024// 0000000032D4: E05C1400 80864434
	s_add_u32 s24, s58, s24                                    // 0000000032DC: 8018183A
	s_addc_u32 s25, 0, s25                                     // 0000000032E0: 82191980
	s_waitcnt vmcnt(10)                                        // 0000000032E4: BF8C0F7A
	s_barrier                                                  // 0000000032E8: BF8A0000
	ds_read_b128 a[0:3], v2                                    // 0000000032EC: DBFE0000 00000002
	ds_read_b128 a[4:7], v2 offset:64                          // 0000000032F4: DBFE0040 04000002
	ds_read_b128 a[8:11], v2 offset:512                        // 0000000032FC: DBFE0200 08000002
	ds_read_b128 a[12:15], v2 offset:576                       // 000000003304: DBFE0240 0C000002
	ds_read_b128 a[16:19], v2 offset:1024                      // 00000000330C: DBFE0400 10000002
	ds_read_b128 a[20:23], v2 offset:1088                      // 000000003314: DBFE0440 14000002
	ds_read_b128 a[24:27], v2 offset:1536                      // 00000000331C: DBFE0600 18000002
	ds_read_b128 a[28:31], v2 offset:1600                      // 000000003324: DBFE0640 1C000002
	s_cmp_lt_i32 s7, 2                                         // 00000000332C: BF048207
	s_cbranch_scc0 label_0A60                                  // 000000003330: BF840810

0000000000003334 <label_024D>:
	s_waitcnt vmcnt(0) lgkmcnt(0)                              // 000000003334: BF8C0070
	s_barrier                                                  // 000000003338: BF8A0000
	v_mfma_f32_16x16x32_fp8_fp8 v[56:59], a[64:65], a[0:1], v[56:59]// 00000000333C: D3F30038 1CE20140
	v_mfma_f32_16x16x32_fp8_fp8 v[56:59], a[66:67], a[2:3], v[56:59]// 000000003344: D3F30038 1CE20542
	buffer_load_dwordx4 a[72:75], v52, s[84:87], 0 offen       // 00000000334C: E05C1000 80954834
	v_mfma_f32_16x16x32_fp8_fp8 v[56:59], a[68:69], a[4:5], v[56:59]// 000000003354: D3F30038 1CE20944
	v_mfma_f32_16x16x32_fp8_fp8 v[56:59], a[70:71], a[6:7], v[56:59]// 00000000335C: D3F30038 1CE20D46
	v_mfma_f32_16x16x32_fp8_fp8 v[60:63], a[64:65], a[8:9], v[60:63]// 000000003364: D3F3003C 1CF21140
	v_mfma_f32_16x16x32_fp8_fp8 v[60:63], a[66:67], a[10:11], v[60:63]// 00000000336C: D3F3003C 1CF21542
	buffer_load_dwordx4 a[76:79], v52, s[84:87], 0 offen offset:1024// 000000003374: E05C1400 80954C34
	buffer_load_dword v44, s[20:23], 0 offen lds               // 00000000337C: E0511000 8005002C
	s_add_u32 m0, 0x100, s48                                   // 000000003384: 807C30FF 00000100
	v_mfma_f32_16x16x32_fp8_fp8 v[60:63], a[68:69], a[12:13], v[60:63]// 00000000338C: D3F3003C 1CF21944
	v_mfma_f32_16x16x32_fp8_fp8 v[60:63], a[70:71], a[14:15], v[60:63]// 000000003394: D3F3003C 1CF21D46
	buffer_load_dword v45, s[20:23], 0 offen lds               // 00000000339C: E0511000 8005002D
	s_add_u32 m0, 0x200, s48                                   // 0000000033A4: 807C30FF 00000200
	v_mfma_f32_16x16x32_fp8_fp8 v[64:67], a[64:65], a[16:17], v[64:67]// 0000000033AC: D3F30040 1D022140
	v_mfma_f32_16x16x32_fp8_fp8 v[64:67], a[66:67], a[18:19], v[64:67]// 0000000033B4: D3F30040 1D022542
	buffer_load_dword v46, s[20:23], 0 offen lds               // 0000000033BC: E0511000 8005002E
	s_add_u32 m0, 0x300, s48                                   // 0000000033C4: 807C30FF 00000300
	v_mfma_f32_16x16x32_fp8_fp8 v[64:67], a[68:69], a[20:21], v[64:67]// 0000000033CC: D3F30040 1D022944
	v_mfma_f32_16x16x32_fp8_fp8 v[64:67], a[70:71], a[22:23], v[64:67]// 0000000033D4: D3F30040 1D022D46
	buffer_load_dword v47, s[20:23], 0 offen lds               // 0000000033DC: E0511000 8005002F
	s_add_u32 m0, 0x400, s48                                   // 0000000033E4: 807C30FF 00000400
	v_mfma_f32_16x16x32_fp8_fp8 v[68:71], a[64:65], a[24:25], v[68:71]// 0000000033EC: D3F30044 1D123140
	v_mfma_f32_16x16x32_fp8_fp8 v[68:71], a[66:67], a[26:27], v[68:71]// 0000000033F4: D3F30044 1D123542
	buffer_load_dword v48, s[20:23], 0 offen lds               // 0000000033FC: E0511000 80050030
	s_add_u32 m0, 0x500, s48                                   // 000000003404: 807C30FF 00000500
	s_add_u32 s60, 0x80, s80                                   // 00000000340C: 803C50FF 00000080
	s_cmp_lt_u32 s60, s81                                      // 000000003414: BF0A513C
	s_cselect_b32 s83, s83, 0                                  // 000000003418: 85538053
	v_mfma_f32_16x16x32_fp8_fp8 v[68:71], a[68:69], a[28:29], v[68:71]// 00000000341C: D3F30044 1D123944
	v_mfma_f32_16x16x32_fp8_fp8 v[68:71], a[70:71], a[30:31], v[68:71]// 000000003424: D3F30044 1D123D46
	buffer_load_dword v49, s[20:23], 0 offen lds               // 00000000342C: E0511000 80050031
	s_add_u32 m0, 0x600, s48                                   // 000000003434: 807C30FF 00000600
	buffer_load_dword v50, s[20:23], 0 offen lds               // 00000000343C: E0511000 80050032
	s_add_u32 m0, 0x700, s48                                   // 000000003444: 807C30FF 00000700
	buffer_load_dword v51, s[20:23], 0 offen lds               // 00000000344C: E0511000 80050033
	s_add_u32 m0, 0, s49                                       // 000000003454: 807C3180
	s_waitcnt vmcnt(8)                                         // 000000003458: BF8C0F78
	v_mfma_f32_16x16x32_fp8_fp8 v[72:75], a[72:73], a[0:1], v[72:75]// 00000000345C: D3F30048 1D220148
	v_mfma_f32_16x16x32_fp8_fp8 v[72:75], a[74:75], a[2:3], v[72:75]// 000000003464: D3F30048 1D22054A
	buffer_load_dwordx4 a[64:67], v52, s[24:27], 0 offen       // 00000000346C: E05C1000 80864034
	v_mfma_f32_16x16x32_fp8_fp8 v[72:75], a[76:77], a[4:5], v[72:75]// 000000003474: D3F30048 1D22094C
	v_mfma_f32_16x16x32_fp8_fp8 v[72:75], a[78:79], a[6:7], v[72:75]// 00000000347C: D3F30048 1D220D4E
	ds_read_b128 a[32:35], v2 offset:8320                      // 000000003484: DBFE2080 20000002
	ds_read_b128 a[36:39], v2 offset:8384                      // 00000000348C: DBFE20C0 24000002
	v_mfma_f32_16x16x32_fp8_fp8 v[76:79], a[72:73], a[8:9], v[76:79]// 000000003494: D3F3004C 1D321148
	v_mfma_f32_16x16x32_fp8_fp8 v[76:79], a[74:75], a[10:11], v[76:79]// 00000000349C: D3F3004C 1D32154A
	buffer_load_dwordx4 a[68:71], v52, s[24:27], 0 offen offset:1024// 0000000034A4: E05C1400 80864434
	v_mfma_f32_16x16x32_fp8_fp8 v[76:79], a[76:77], a[12:13], v[76:79]// 0000000034AC: D3F3004C 1D32194C
	v_mfma_f32_16x16x32_fp8_fp8 v[76:79], a[78:79], a[14:15], v[76:79]// 0000000034B4: D3F3004C 1D321D4E
	ds_read_b128 a[40:43], v2 offset:8832                      // 0000000034BC: DBFE2280 28000002
	ds_read_b128 a[44:47], v2 offset:8896                      // 0000000034C4: DBFE22C0 2C000002
	v_mfma_f32_16x16x32_fp8_fp8 v[80:83], a[72:73], a[16:17], v[80:83]// 0000000034CC: D3F30050 1D422148
	v_mfma_f32_16x16x32_fp8_fp8 v[80:83], a[74:75], a[18:19], v[80:83]// 0000000034D4: D3F30050 1D42254A
	v_mfma_f32_16x16x32_fp8_fp8 v[80:83], a[76:77], a[20:21], v[80:83]// 0000000034DC: D3F30050 1D42294C
	s_add_u32 s60, 0x180, s80                                  // 0000000034E4: 803C50FF 00000180
	s_cmp_lt_u32 s60, s81                                      // 0000000034EC: BF0A513C
	s_cselect_b32 s57, s57, 0                                  // 0000000034F0: 85398039
	v_mfma_f32_16x16x32_fp8_fp8 v[80:83], a[78:79], a[22:23], v[80:83]// 0000000034F4: D3F30050 1D422D4E
	ds_read_b128 a[48:51], v2 offset:9344                      // 0000000034FC: DBFE2480 30000002
	ds_read_b128 a[52:55], v2 offset:9408                      // 000000003504: DBFE24C0 34000002
	s_add_u32 s60, 0x100, s80                                  // 00000000350C: 803C50FF 00000100
	s_cmp_lt_u32 s60, s81                                      // 000000003514: BF0A513C
	s_cselect_b32 s58, s58, 0                                  // 000000003518: 853A803A
	v_mfma_f32_16x16x32_fp8_fp8 v[84:87], a[72:73], a[24:25], v[84:87]// 00000000351C: D3F30054 1D523148
	s_add_u32 s24, s58, s24                                    // 000000003524: 8018183A
	s_addc_u32 s25, 0, s25                                     // 000000003528: 82191980
	v_mfma_f32_16x16x32_fp8_fp8 v[84:87], a[74:75], a[26:27], v[84:87]// 00000000352C: D3F30054 1D52354A
	s_add_u32 s20, s57, s20                                    // 000000003534: 80141439
	s_addc_u32 s21, 0, s21                                     // 000000003538: 82151580
	v_mfma_f32_16x16x32_fp8_fp8 v[84:87], a[76:77], a[28:29], v[84:87]// 00000000353C: D3F30054 1D52394C
	s_add_u32 s84, s83, s84                                    // 000000003544: 80545453
	s_addc_u32 s85, 0, s85                                     // 000000003548: 82555580
	v_mfma_f32_16x16x32_fp8_fp8 v[84:87], a[78:79], a[30:31], v[84:87]// 00000000354C: D3F30054 1D523D4E
	ds_read_b128 a[56:59], v2 offset:9856                      // 000000003554: DBFE2680 38000002
	ds_read_b128 a[60:63], v2 offset:9920                      // 00000000355C: DBFE26C0 3C000002
	s_addk_i32 s80, 0x80                                       // 000000003564: B7500080
	s_cmp_lt_i32 s80, s81                                      // 000000003568: BF045150
	s_cbranch_scc0 label_036C                                  // 00000000356C: BF840090
	s_waitcnt vmcnt(0) lgkmcnt(0)                              // 000000003570: BF8C0070
	s_barrier                                                  // 000000003574: BF8A0000
	v_mfma_f32_16x16x32_fp8_fp8 v[56:59], a[64:65], a[32:33], v[56:59]// 000000003578: D3F30038 1CE24140
	v_mfma_f32_16x16x32_fp8_fp8 v[56:59], a[66:67], a[34:35], v[56:59]// 000000003580: D3F30038 1CE24542
	buffer_load_dwordx4 a[72:75], v52, s[84:87], 0 offen       // 000000003588: E05C1000 80954834
	v_mfma_f32_16x16x32_fp8_fp8 v[56:59], a[68:69], a[36:37], v[56:59]// 000000003590: D3F30038 1CE24944
	v_mfma_f32_16x16x32_fp8_fp8 v[56:59], a[70:71], a[38:39], v[56:59]// 000000003598: D3F30038 1CE24D46
	v_mfma_f32_16x16x32_fp8_fp8 v[60:63], a[64:65], a[40:41], v[60:63]// 0000000035A0: D3F3003C 1CF25140
	v_mfma_f32_16x16x32_fp8_fp8 v[60:63], a[66:67], a[42:43], v[60:63]// 0000000035A8: D3F3003C 1CF25542
	buffer_load_dwordx4 a[76:79], v52, s[84:87], 0 offen offset:1024// 0000000035B0: E05C1400 80954C34
	buffer_load_dword v44, s[20:23], 0 offen lds               // 0000000035B8: E0511000 8005002C
	s_add_u32 m0, 0x100, s49                                   // 0000000035C0: 807C31FF 00000100
	v_mfma_f32_16x16x32_fp8_fp8 v[60:63], a[68:69], a[44:45], v[60:63]// 0000000035C8: D3F3003C 1CF25944
	v_mfma_f32_16x16x32_fp8_fp8 v[60:63], a[70:71], a[46:47], v[60:63]// 0000000035D0: D3F3003C 1CF25D46
	buffer_load_dword v45, s[20:23], 0 offen lds               // 0000000035D8: E0511000 8005002D
	s_add_u32 m0, 0x200, s49                                   // 0000000035E0: 807C31FF 00000200
	v_mfma_f32_16x16x32_fp8_fp8 v[64:67], a[64:65], a[48:49], v[64:67]// 0000000035E8: D3F30040 1D026140
	v_mfma_f32_16x16x32_fp8_fp8 v[64:67], a[66:67], a[50:51], v[64:67]// 0000000035F0: D3F30040 1D026542
	buffer_load_dword v46, s[20:23], 0 offen lds               // 0000000035F8: E0511000 8005002E
	s_add_u32 m0, 0x300, s49                                   // 000000003600: 807C31FF 00000300
	v_mfma_f32_16x16x32_fp8_fp8 v[64:67], a[68:69], a[52:53], v[64:67]// 000000003608: D3F30040 1D026944
	v_mfma_f32_16x16x32_fp8_fp8 v[64:67], a[70:71], a[54:55], v[64:67]// 000000003610: D3F30040 1D026D46
	buffer_load_dword v47, s[20:23], 0 offen lds               // 000000003618: E0511000 8005002F
	s_add_u32 m0, 0x400, s49                                   // 000000003620: 807C31FF 00000400
	v_mfma_f32_16x16x32_fp8_fp8 v[68:71], a[64:65], a[56:57], v[68:71]// 000000003628: D3F30044 1D127140
	v_mfma_f32_16x16x32_fp8_fp8 v[68:71], a[66:67], a[58:59], v[68:71]// 000000003630: D3F30044 1D127542
	buffer_load_dword v48, s[20:23], 0 offen lds               // 000000003638: E0511000 80050030
	s_add_u32 m0, 0x500, s49                                   // 000000003640: 807C31FF 00000500
	s_add_u32 s60, 0x80, s80                                   // 000000003648: 803C50FF 00000080
	s_cmp_lt_u32 s60, s81                                      // 000000003650: BF0A513C
	s_cselect_b32 s83, s83, 0                                  // 000000003654: 85538053
	v_mfma_f32_16x16x32_fp8_fp8 v[68:71], a[68:69], a[60:61], v[68:71]// 000000003658: D3F30044 1D127944
	v_mfma_f32_16x16x32_fp8_fp8 v[68:71], a[70:71], a[62:63], v[68:71]// 000000003660: D3F30044 1D127D46
	buffer_load_dword v49, s[20:23], 0 offen lds               // 000000003668: E0511000 80050031
	s_add_u32 m0, 0x600, s49                                   // 000000003670: 807C31FF 00000600
	buffer_load_dword v50, s[20:23], 0 offen lds               // 000000003678: E0511000 80050032
	s_add_u32 m0, 0x700, s49                                   // 000000003680: 807C31FF 00000700
	buffer_load_dword v51, s[20:23], 0 offen lds               // 000000003688: E0511000 80050033
	s_add_u32 m0, 0, s48                                       // 000000003690: 807C3080
	s_waitcnt vmcnt(8)                                         // 000000003694: BF8C0F78
	v_mfma_f32_16x16x32_fp8_fp8 v[72:75], a[72:73], a[32:33], v[72:75]// 000000003698: D3F30048 1D224148
	v_mfma_f32_16x16x32_fp8_fp8 v[72:75], a[74:75], a[34:35], v[72:75]// 0000000036A0: D3F30048 1D22454A
	buffer_load_dwordx4 a[64:67], v52, s[24:27], 0 offen       // 0000000036A8: E05C1000 80864034
	v_mfma_f32_16x16x32_fp8_fp8 v[72:75], a[76:77], a[36:37], v[72:75]// 0000000036B0: D3F30048 1D22494C
	v_mfma_f32_16x16x32_fp8_fp8 v[72:75], a[78:79], a[38:39], v[72:75]// 0000000036B8: D3F30048 1D224D4E
	ds_read_b128 a[0:3], v2                                    // 0000000036C0: DBFE0000 00000002
	ds_read_b128 a[4:7], v2 offset:64                          // 0000000036C8: DBFE0040 04000002
	v_mfma_f32_16x16x32_fp8_fp8 v[76:79], a[72:73], a[40:41], v[76:79]// 0000000036D0: D3F3004C 1D325148
	v_mfma_f32_16x16x32_fp8_fp8 v[76:79], a[74:75], a[42:43], v[76:79]// 0000000036D8: D3F3004C 1D32554A
	buffer_load_dwordx4 a[68:71], v52, s[24:27], 0 offen offset:1024// 0000000036E0: E05C1400 80864434
	v_mfma_f32_16x16x32_fp8_fp8 v[76:79], a[76:77], a[44:45], v[76:79]// 0000000036E8: D3F3004C 1D32594C
	v_mfma_f32_16x16x32_fp8_fp8 v[76:79], a[78:79], a[46:47], v[76:79]// 0000000036F0: D3F3004C 1D325D4E
	ds_read_b128 a[8:11], v2 offset:512                        // 0000000036F8: DBFE0200 08000002
	ds_read_b128 a[12:15], v2 offset:576                       // 000000003700: DBFE0240 0C000002
	v_mfma_f32_16x16x32_fp8_fp8 v[80:83], a[72:73], a[48:49], v[80:83]// 000000003708: D3F30050 1D426148
	v_mfma_f32_16x16x32_fp8_fp8 v[80:83], a[74:75], a[50:51], v[80:83]// 000000003710: D3F30050 1D42654A
	v_mfma_f32_16x16x32_fp8_fp8 v[80:83], a[76:77], a[52:53], v[80:83]// 000000003718: D3F30050 1D42694C
	s_add_u32 s60, 0x180, s80                                  // 000000003720: 803C50FF 00000180
	s_cmp_lt_u32 s60, s81                                      // 000000003728: BF0A513C
	s_cselect_b32 s57, s57, 0                                  // 00000000372C: 85398039
	v_mfma_f32_16x16x32_fp8_fp8 v[80:83], a[78:79], a[54:55], v[80:83]// 000000003730: D3F30050 1D426D4E
	ds_read_b128 a[16:19], v2 offset:1024                      // 000000003738: DBFE0400 10000002
	ds_read_b128 a[20:23], v2 offset:1088                      // 000000003740: DBFE0440 14000002
	s_add_u32 s60, 0x100, s80                                  // 000000003748: 803C50FF 00000100
	s_cmp_lt_u32 s60, s81                                      // 000000003750: BF0A513C
	s_cselect_b32 s58, s58, 0                                  // 000000003754: 853A803A
	v_mfma_f32_16x16x32_fp8_fp8 v[84:87], a[72:73], a[56:57], v[84:87]// 000000003758: D3F30054 1D527148
	s_add_u32 s24, s58, s24                                    // 000000003760: 8018183A
	s_addc_u32 s25, 0, s25                                     // 000000003764: 82191980
	v_mfma_f32_16x16x32_fp8_fp8 v[84:87], a[74:75], a[58:59], v[84:87]// 000000003768: D3F30054 1D52754A
	s_add_u32 s20, s57, s20                                    // 000000003770: 80141439
	s_addc_u32 s21, 0, s21                                     // 000000003774: 82151580
	v_mfma_f32_16x16x32_fp8_fp8 v[84:87], a[76:77], a[60:61], v[84:87]// 000000003778: D3F30054 1D52794C
	s_add_u32 s84, s83, s84                                    // 000000003780: 80545453
	s_addc_u32 s85, 0, s85                                     // 000000003784: 82555580
	v_mfma_f32_16x16x32_fp8_fp8 v[84:87], a[78:79], a[62:63], v[84:87]// 000000003788: D3F30054 1D527D4E
	ds_read_b128 a[24:27], v2 offset:1536                      // 000000003790: DBFE0600 18000002
	ds_read_b128 a[28:31], v2 offset:1600                      // 000000003798: DBFE0640 1C000002
	s_addk_i32 s80, 0x80                                       // 0000000037A0: B7500080
	s_cmp_lt_i32 s80, s81                                      // 0000000037A4: BF045150
	s_cbranch_scc0 label_036C                                  // 0000000037A8: BF840001
	s_branch label_024D                                        // 0000000037AC: BF82FEE1

00000000000037b0 <label_036C>:
	v_mul_f32_dpp v56, v24, v56 row_newbcast:0 row_mask:0xf bank_mask:0xf// 0000000037B0: 0A7070FA FF015018
	v_mul_f32_dpp v57, v24, v57 row_newbcast:1 row_mask:0xf bank_mask:0xf// 0000000037B8: 0A7272FA FF015118
	v_mul_f32_dpp v58, v24, v58 row_newbcast:2 row_mask:0xf bank_mask:0xf// 0000000037C0: 0A7474FA FF015218
	v_mul_f32_dpp v59, v24, v59 row_newbcast:3 row_mask:0xf bank_mask:0xf// 0000000037C8: 0A7676FA FF015318
	v_mul_f32_dpp v60, v24, v60 row_newbcast:0 row_mask:0xf bank_mask:0xf// 0000000037D0: 0A7878FA FF015018
	v_mul_f32_dpp v61, v24, v61 row_newbcast:1 row_mask:0xf bank_mask:0xf// 0000000037D8: 0A7A7AFA FF015118
	v_mul_f32_dpp v62, v24, v62 row_newbcast:2 row_mask:0xf bank_mask:0xf// 0000000037E0: 0A7C7CFA FF015218
	v_mul_f32_dpp v63, v24, v63 row_newbcast:3 row_mask:0xf bank_mask:0xf// 0000000037E8: 0A7E7EFA FF015318
	v_mul_f32_dpp v64, v24, v64 row_newbcast:0 row_mask:0xf bank_mask:0xf// 0000000037F0: 0A8080FA FF015018
	v_mul_f32_dpp v65, v24, v65 row_newbcast:1 row_mask:0xf bank_mask:0xf// 0000000037F8: 0A8282FA FF015118
	v_mul_f32_dpp v66, v24, v66 row_newbcast:2 row_mask:0xf bank_mask:0xf// 000000003800: 0A8484FA FF015218
	v_mul_f32_dpp v67, v24, v67 row_newbcast:3 row_mask:0xf bank_mask:0xf// 000000003808: 0A8686FA FF015318
	v_mul_f32_dpp v68, v24, v68 row_newbcast:0 row_mask:0xf bank_mask:0xf// 000000003810: 0A8888FA FF015018
	v_mul_f32_dpp v69, v24, v69 row_newbcast:1 row_mask:0xf bank_mask:0xf// 000000003818: 0A8A8AFA FF015118
	v_mul_f32_dpp v70, v24, v70 row_newbcast:2 row_mask:0xf bank_mask:0xf// 000000003820: 0A8C8CFA FF015218
	v_mul_f32_dpp v71, v24, v71 row_newbcast:3 row_mask:0xf bank_mask:0xf// 000000003828: 0A8E8EFA FF015318
	v_mul_f32_dpp v72, v26, v72 row_newbcast:0 row_mask:0xf bank_mask:0xf// 000000003830: 0A9090FA FF01501A
	v_mul_f32_dpp v73, v26, v73 row_newbcast:1 row_mask:0xf bank_mask:0xf// 000000003838: 0A9292FA FF01511A
	v_mul_f32_dpp v74, v26, v74 row_newbcast:2 row_mask:0xf bank_mask:0xf// 000000003840: 0A9494FA FF01521A
	v_mul_f32_dpp v75, v26, v75 row_newbcast:3 row_mask:0xf bank_mask:0xf// 000000003848: 0A9696FA FF01531A
	v_mul_f32_dpp v76, v26, v76 row_newbcast:0 row_mask:0xf bank_mask:0xf// 000000003850: 0A9898FA FF01501A
	v_mul_f32_dpp v77, v26, v77 row_newbcast:1 row_mask:0xf bank_mask:0xf// 000000003858: 0A9A9AFA FF01511A
	v_mul_f32_dpp v78, v26, v78 row_newbcast:2 row_mask:0xf bank_mask:0xf// 000000003860: 0A9C9CFA FF01521A
	v_mul_f32_dpp v79, v26, v79 row_newbcast:3 row_mask:0xf bank_mask:0xf// 000000003868: 0A9E9EFA FF01531A
	v_mul_f32_dpp v80, v26, v80 row_newbcast:0 row_mask:0xf bank_mask:0xf// 000000003870: 0AA0A0FA FF01501A
	v_mul_f32_dpp v81, v26, v81 row_newbcast:1 row_mask:0xf bank_mask:0xf// 000000003878: 0AA2A2FA FF01511A
	v_mul_f32_dpp v82, v26, v82 row_newbcast:2 row_mask:0xf bank_mask:0xf// 000000003880: 0AA4A4FA FF01521A
	v_mul_f32_dpp v83, v26, v83 row_newbcast:3 row_mask:0xf bank_mask:0xf// 000000003888: 0AA6A6FA FF01531A
	v_mul_f32_dpp v84, v26, v84 row_newbcast:0 row_mask:0xf bank_mask:0xf// 000000003890: 0AA8A8FA FF01501A
	v_mul_f32_dpp v85, v26, v85 row_newbcast:1 row_mask:0xf bank_mask:0xf// 000000003898: 0AAAAAFA FF01511A
	v_mul_f32_dpp v86, v26, v86 row_newbcast:2 row_mask:0xf bank_mask:0xf// 0000000038A0: 0AACACFA FF01521A
	v_mul_f32_dpp v87, v26, v87 row_newbcast:3 row_mask:0xf bank_mask:0xf// 0000000038A8: 0AAEAEFA FF01531A
	v_mul_f32_e32 v32, v32, v88                                // 0000000038B0: 0A40B120
	v_mov_b32_e32 v4, v32                                      // 0000000038B4: 7E080320
	v_mov_b32_e32 v5, v4                                       // 0000000038B8: 7E0A0304
	v_pk_mul_f32 v[56:57], v[4:5], v[56:57]                    // 0000000038BC: D3B14038 18027104
	v_pk_mul_f32 v[72:73], v[4:5], v[72:73]                    // 0000000038C4: D3B14048 18029104
	v_pk_mul_f32 v[58:59], v[4:5], v[58:59]                    // 0000000038CC: D3B1403A 18027504
	v_pk_mul_f32 v[74:75], v[4:5], v[74:75]                    // 0000000038D4: D3B1404A 18029504
	v_mul_f32_e32 v33, v33, v89                                // 0000000038DC: 0A42B321
	v_mov_b32_e32 v4, v33                                      // 0000000038E0: 7E080321
	v_mov_b32_e32 v5, v4                                       // 0000000038E4: 7E0A0304
	v_pk_mul_f32 v[60:61], v[4:5], v[60:61]                    // 0000000038E8: D3B1403C 18027904
	v_pk_mul_f32 v[76:77], v[4:5], v[76:77]                    // 0000000038F0: D3B1404C 18029904
	v_pk_mul_f32 v[62:63], v[4:5], v[62:63]                    // 0000000038F8: D3B1403E 18027D04
	v_pk_mul_f32 v[78:79], v[4:5], v[78:79]                    // 000000003900: D3B1404E 18029D04
	v_mul_f32_e32 v34, v34, v90                                // 000000003908: 0A44B522
	v_mov_b32_e32 v4, v34                                      // 00000000390C: 7E080322
	v_mov_b32_e32 v5, v4                                       // 000000003910: 7E0A0304
	v_pk_mul_f32 v[64:65], v[4:5], v[64:65]                    // 000000003914: D3B14040 18028104
	v_pk_mul_f32 v[80:81], v[4:5], v[80:81]                    // 00000000391C: D3B14050 1802A104
	v_pk_mul_f32 v[66:67], v[4:5], v[66:67]                    // 000000003924: D3B14042 18028504
	v_pk_mul_f32 v[82:83], v[4:5], v[82:83]                    // 00000000392C: D3B14052 1802A504
	v_mul_f32_e32 v35, v35, v91                                // 000000003934: 0A46B723
	v_mov_b32_e32 v4, v35                                      // 000000003938: 7E080323
	v_mov_b32_e32 v5, v4                                       // 00000000393C: 7E0A0304
	v_pk_mul_f32 v[68:69], v[4:5], v[68:69]                    // 000000003940: D3B14044 18028904
	v_pk_mul_f32 v[84:85], v[4:5], v[84:85]                    // 000000003948: D3B14054 1802A904
	v_pk_mul_f32 v[70:71], v[4:5], v[70:71]                    // 000000003950: D3B14046 18028D04
	v_pk_mul_f32 v[86:87], v[4:5], v[86:87]                    // 000000003958: D3B14056 1802AD04
	s_cmp_eq_u32 s88, 0                                        // 000000003960: BF068058
	s_cbranch_scc0 label_06E3                                  // 000000003964: BF840309
	s_cmp_eq_u32 s89, 0                                        // 000000003968: BF068059
	s_cbranch_scc1 label_0481                                  // 00000000396C: BF8500A5
	v_mov_b32_e32 v8, v1                                       // 000000003970: 7E100301
	v_mov_b32_e32 v9, v1                                       // 000000003974: 7E120301
	s_mov_b32 s60, s6                                          // 000000003978: BEBC0006
	s_mov_b32 s61, s6                                          // 00000000397C: BEBD0006
	v_pk_mul_f32 v[4:5], v[56:57], v[56:57]                    // 000000003980: D3B14004 18027138
	v_pk_mul_f32 v[6:7], v[58:59], v[58:59]                    // 000000003988: D3B14006 1802753A
	v_pk_fma_f32 v[4:5], v[4:5], s[78:79], v[8:9]              // 000000003990: D3B04004 1C209D04
	v_pk_fma_f32 v[6:7], v[6:7], s[78:79], v[8:9]              // 000000003998: D3B04006 1C209D06
	v_pk_mul_f32 v[4:5], v[4:5], v[56:57]                      // 0000000039A0: D3B14004 18027104
	v_pk_mul_f32 v[6:7], v[6:7], v[58:59]                      // 0000000039A8: D3B14006 18027506
	v_pk_mul_f32 v[4:5], v[4:5], s[60:61]                      // 0000000039B0: D3B14004 18007904
	v_pk_mul_f32 v[6:7], v[6:7], s[60:61]                      // 0000000039B8: D3B14006 18007906
	v_exp_f32_e32 v4, v4                                       // 0000000039C0: 7E084104
	v_exp_f32_e32 v5, v5                                       // 0000000039C4: 7E0A4105
	v_exp_f32_e32 v6, v6                                       // 0000000039C8: 7E0C4106
	v_exp_f32_e32 v7, v7                                       // 0000000039CC: 7E0E4107
	v_add_f32_e64 v4, v4, 1.0                                  // 0000000039D0: D1010004 0001E504
	v_add_f32_e64 v5, v5, 1.0                                  // 0000000039D8: D1010005 0001E505
	v_add_f32_e64 v6, v6, 1.0                                  // 0000000039E0: D1010006 0001E506
	v_add_f32_e64 v7, v7, 1.0                                  // 0000000039E8: D1010007 0001E507
	v_rcp_f32_e32 v4, v4                                       // 0000000039F0: 7E084504
	v_rcp_f32_e32 v5, v5                                       // 0000000039F4: 7E0A4505
	v_rcp_f32_e32 v6, v6                                       // 0000000039F8: 7E0C4506
	v_rcp_f32_e32 v7, v7                                       // 0000000039FC: 7E0E4507
	v_mul_f32_e32 v56, v56, v4                                 // 000000003A00: 0A700938
	v_mul_f32_e32 v57, v57, v5                                 // 000000003A04: 0A720B39
	v_mul_f32_e32 v58, v58, v6                                 // 000000003A08: 0A740D3A
	v_mul_f32_e32 v59, v59, v7                                 // 000000003A0C: 0A760F3B
	v_mul_f32_e32 v56, v56, v72                                // 000000003A10: 0A709138
	v_mul_f32_e32 v57, v57, v73                                // 000000003A14: 0A729339
	v_mul_f32_e32 v58, v58, v74                                // 000000003A18: 0A74953A
	v_mul_f32_e32 v59, v59, v75                                // 000000003A1C: 0A76973B
	v_pk_mul_f32 v[4:5], v[60:61], v[60:61]                    // 000000003A20: D3B14004 1802793C
	v_pk_mul_f32 v[6:7], v[62:63], v[62:63]                    // 000000003A28: D3B14006 18027D3E
	v_pk_fma_f32 v[4:5], v[4:5], s[78:79], v[8:9]              // 000000003A30: D3B04004 1C209D04
	v_pk_fma_f32 v[6:7], v[6:7], s[78:79], v[8:9]              // 000000003A38: D3B04006 1C209D06
	v_pk_mul_f32 v[4:5], v[4:5], v[60:61]                      // 000000003A40: D3B14004 18027904
	v_pk_mul_f32 v[6:7], v[6:7], v[62:63]                      // 000000003A48: D3B14006 18027D06
	v_pk_mul_f32 v[4:5], v[4:5], s[60:61]                      // 000000003A50: D3B14004 18007904
	v_pk_mul_f32 v[6:7], v[6:7], s[60:61]                      // 000000003A58: D3B14006 18007906
	v_exp_f32_e32 v4, v4                                       // 000000003A60: 7E084104
	v_exp_f32_e32 v5, v5                                       // 000000003A64: 7E0A4105
	v_exp_f32_e32 v6, v6                                       // 000000003A68: 7E0C4106
	v_exp_f32_e32 v7, v7                                       // 000000003A6C: 7E0E4107
	v_add_f32_e64 v4, v4, 1.0                                  // 000000003A70: D1010004 0001E504
	v_add_f32_e64 v5, v5, 1.0                                  // 000000003A78: D1010005 0001E505
	v_add_f32_e64 v6, v6, 1.0                                  // 000000003A80: D1010006 0001E506
	v_add_f32_e64 v7, v7, 1.0                                  // 000000003A88: D1010007 0001E507
	v_rcp_f32_e32 v4, v4                                       // 000000003A90: 7E084504
	v_rcp_f32_e32 v5, v5                                       // 000000003A94: 7E0A4505
	v_rcp_f32_e32 v6, v6                                       // 000000003A98: 7E0C4506
	v_rcp_f32_e32 v7, v7                                       // 000000003A9C: 7E0E4507
	v_mul_f32_e32 v60, v60, v4                                 // 000000003AA0: 0A78093C
	v_mul_f32_e32 v61, v61, v5                                 // 000000003AA4: 0A7A0B3D
	v_mul_f32_e32 v62, v62, v6                                 // 000000003AA8: 0A7C0D3E
	v_mul_f32_e32 v63, v63, v7                                 // 000000003AAC: 0A7E0F3F
	v_mul_f32_e32 v60, v60, v76                                // 000000003AB0: 0A78993C
	v_mul_f32_e32 v61, v61, v77                                // 000000003AB4: 0A7A9B3D
	v_mul_f32_e32 v62, v62, v78                                // 000000003AB8: 0A7C9D3E
	v_mul_f32_e32 v63, v63, v79                                // 000000003ABC: 0A7E9F3F
	v_pk_mul_f32 v[4:5], v[64:65], v[64:65]                    // 000000003AC0: D3B14004 18028140
	v_pk_mul_f32 v[6:7], v[66:67], v[66:67]                    // 000000003AC8: D3B14006 18028542
	v_pk_fma_f32 v[4:5], v[4:5], s[78:79], v[8:9]              // 000000003AD0: D3B04004 1C209D04
	v_pk_fma_f32 v[6:7], v[6:7], s[78:79], v[8:9]              // 000000003AD8: D3B04006 1C209D06
	v_pk_mul_f32 v[4:5], v[4:5], v[64:65]                      // 000000003AE0: D3B14004 18028104
	v_pk_mul_f32 v[6:7], v[6:7], v[66:67]                      // 000000003AE8: D3B14006 18028506
	v_pk_mul_f32 v[4:5], v[4:5], s[60:61]                      // 000000003AF0: D3B14004 18007904
	v_pk_mul_f32 v[6:7], v[6:7], s[60:61]                      // 000000003AF8: D3B14006 18007906
	v_exp_f32_e32 v4, v4                                       // 000000003B00: 7E084104
	v_exp_f32_e32 v5, v5                                       // 000000003B04: 7E0A4105
	v_exp_f32_e32 v6, v6                                       // 000000003B08: 7E0C4106
	v_exp_f32_e32 v7, v7                                       // 000000003B0C: 7E0E4107
	v_add_f32_e64 v4, v4, 1.0                                  // 000000003B10: D1010004 0001E504
	v_add_f32_e64 v5, v5, 1.0                                  // 000000003B18: D1010005 0001E505
	v_add_f32_e64 v6, v6, 1.0                                  // 000000003B20: D1010006 0001E506
	v_add_f32_e64 v7, v7, 1.0                                  // 000000003B28: D1010007 0001E507
	v_rcp_f32_e32 v4, v4                                       // 000000003B30: 7E084504
	v_rcp_f32_e32 v5, v5                                       // 000000003B34: 7E0A4505
	v_rcp_f32_e32 v6, v6                                       // 000000003B38: 7E0C4506
	v_rcp_f32_e32 v7, v7                                       // 000000003B3C: 7E0E4507
	v_mul_f32_e32 v64, v64, v4                                 // 000000003B40: 0A800940
	v_mul_f32_e32 v65, v65, v5                                 // 000000003B44: 0A820B41
	v_mul_f32_e32 v66, v66, v6                                 // 000000003B48: 0A840D42
	v_mul_f32_e32 v67, v67, v7                                 // 000000003B4C: 0A860F43
	v_mul_f32_e32 v64, v64, v80                                // 000000003B50: 0A80A140
	v_mul_f32_e32 v65, v65, v81                                // 000000003B54: 0A82A341
	v_mul_f32_e32 v66, v66, v82                                // 000000003B58: 0A84A542
	v_mul_f32_e32 v67, v67, v83                                // 000000003B5C: 0A86A743
	v_pk_mul_f32 v[4:5], v[68:69], v[68:69]                    // 000000003B60: D3B14004 18028944
	v_pk_mul_f32 v[6:7], v[70:71], v[70:71]                    // 000000003B68: D3B14006 18028D46
	v_pk_fma_f32 v[4:5], v[4:5], s[78:79], v[8:9]              // 000000003B70: D3B04004 1C209D04
	v_pk_fma_f32 v[6:7], v[6:7], s[78:79], v[8:9]              // 000000003B78: D3B04006 1C209D06
	v_pk_mul_f32 v[4:5], v[4:5], v[68:69]                      // 000000003B80: D3B14004 18028904
	v_pk_mul_f32 v[6:7], v[6:7], v[70:71]                      // 000000003B88: D3B14006 18028D06
	v_pk_mul_f32 v[4:5], v[4:5], s[60:61]                      // 000000003B90: D3B14004 18007904
	v_pk_mul_f32 v[6:7], v[6:7], s[60:61]                      // 000000003B98: D3B14006 18007906
	v_exp_f32_e32 v4, v4                                       // 000000003BA0: 7E084104
	v_exp_f32_e32 v5, v5                                       // 000000003BA4: 7E0A4105
	v_exp_f32_e32 v6, v6                                       // 000000003BA8: 7E0C4106
	v_exp_f32_e32 v7, v7                                       // 000000003BAC: 7E0E4107
	v_add_f32_e64 v4, v4, 1.0                                  // 000000003BB0: D1010004 0001E504
	v_add_f32_e64 v5, v5, 1.0                                  // 000000003BB8: D1010005 0001E505
	v_add_f32_e64 v6, v6, 1.0                                  // 000000003BC0: D1010006 0001E506
	v_add_f32_e64 v7, v7, 1.0                                  // 000000003BC8: D1010007 0001E507
	v_rcp_f32_e32 v4, v4                                       // 000000003BD0: 7E084504
	v_rcp_f32_e32 v5, v5                                       // 000000003BD4: 7E0A4505
	v_rcp_f32_e32 v6, v6                                       // 000000003BD8: 7E0C4506
	v_rcp_f32_e32 v7, v7                                       // 000000003BDC: 7E0E4507
	v_mul_f32_e32 v68, v68, v4                                 // 000000003BE0: 0A880944
	v_mul_f32_e32 v69, v69, v5                                 // 000000003BE4: 0A8A0B45
	v_mul_f32_e32 v70, v70, v6                                 // 000000003BE8: 0A8C0D46
	v_mul_f32_e32 v71, v71, v7                                 // 000000003BEC: 0A8E0F47
	v_mul_f32_e32 v68, v68, v84                                // 000000003BF0: 0A88A944
	v_mul_f32_e32 v69, v69, v85                                // 000000003BF4: 0A8AAB45
	v_mul_f32_e32 v70, v70, v86                                // 000000003BF8: 0A8CAD46
	v_mul_f32_e32 v71, v71, v87                                // 000000003BFC: 0A8EAF47
	s_branch label_0501                                        // 000000003C00: BF820080

0000000000003c04 <label_0481>:
	v_mul_f32_e64 v4, -v56, s6                                 // 000000003C04: D1050004 20000D38
	v_mul_f32_e64 v5, -v57, s6                                 // 000000003C0C: D1050005 20000D39
	v_mul_f32_e64 v6, -v58, s6                                 // 000000003C14: D1050006 20000D3A
	v_mul_f32_e64 v7, -v59, s6                                 // 000000003C1C: D1050007 20000D3B
	v_exp_f32_e32 v4, v4                                       // 000000003C24: 7E084104
	v_exp_f32_e32 v5, v5                                       // 000000003C28: 7E0A4105
	v_exp_f32_e32 v6, v6                                       // 000000003C2C: 7E0C4106
	v_exp_f32_e32 v7, v7                                       // 000000003C30: 7E0E4107
	v_add_f32_e64 v4, v4, 1.0                                  // 000000003C34: D1010004 0001E504
	v_add_f32_e64 v5, v5, 1.0                                  // 000000003C3C: D1010005 0001E505
	v_add_f32_e64 v6, v6, 1.0                                  // 000000003C44: D1010006 0001E506
	v_add_f32_e64 v7, v7, 1.0                                  // 000000003C4C: D1010007 0001E507
	v_rcp_f32_e32 v4, v4                                       // 000000003C54: 7E084504
	v_rcp_f32_e32 v5, v5                                       // 000000003C58: 7E0A4505
	v_rcp_f32_e32 v6, v6                                       // 000000003C5C: 7E0C4506
	v_rcp_f32_e32 v7, v7                                       // 000000003C60: 7E0E4507
	v_mul_f32_e32 v56, v56, v4                                 // 000000003C64: 0A700938
	v_mul_f32_e32 v57, v57, v5                                 // 000000003C68: 0A720B39
	v_mul_f32_e32 v58, v58, v6                                 // 000000003C6C: 0A740D3A
	v_mul_f32_e32 v59, v59, v7                                 // 000000003C70: 0A760F3B
	v_mul_f32_e32 v56, v56, v72                                // 000000003C74: 0A709138
	v_mul_f32_e32 v57, v57, v73                                // 000000003C78: 0A729339
	v_mul_f32_e32 v58, v58, v74                                // 000000003C7C: 0A74953A
	v_mul_f32_e32 v59, v59, v75                                // 000000003C80: 0A76973B
	v_mul_f32_e64 v4, -v60, s6                                 // 000000003C84: D1050004 20000D3C
	v_mul_f32_e64 v5, -v61, s6                                 // 000000003C8C: D1050005 20000D3D
	v_mul_f32_e64 v6, -v62, s6                                 // 000000003C94: D1050006 20000D3E
	v_mul_f32_e64 v7, -v63, s6                                 // 000000003C9C: D1050007 20000D3F
	v_exp_f32_e32 v4, v4                                       // 000000003CA4: 7E084104
	v_exp_f32_e32 v5, v5                                       // 000000003CA8: 7E0A4105
	v_exp_f32_e32 v6, v6                                       // 000000003CAC: 7E0C4106
	v_exp_f32_e32 v7, v7                                       // 000000003CB0: 7E0E4107
	v_add_f32_e64 v4, v4, 1.0                                  // 000000003CB4: D1010004 0001E504
	v_add_f32_e64 v5, v5, 1.0                                  // 000000003CBC: D1010005 0001E505
	v_add_f32_e64 v6, v6, 1.0                                  // 000000003CC4: D1010006 0001E506
	v_add_f32_e64 v7, v7, 1.0                                  // 000000003CCC: D1010007 0001E507
	v_rcp_f32_e32 v4, v4                                       // 000000003CD4: 7E084504
	v_rcp_f32_e32 v5, v5                                       // 000000003CD8: 7E0A4505
	v_rcp_f32_e32 v6, v6                                       // 000000003CDC: 7E0C4506
	v_rcp_f32_e32 v7, v7                                       // 000000003CE0: 7E0E4507
	v_mul_f32_e32 v60, v60, v4                                 // 000000003CE4: 0A78093C
	v_mul_f32_e32 v61, v61, v5                                 // 000000003CE8: 0A7A0B3D
	v_mul_f32_e32 v62, v62, v6                                 // 000000003CEC: 0A7C0D3E
	v_mul_f32_e32 v63, v63, v7                                 // 000000003CF0: 0A7E0F3F
	v_mul_f32_e32 v60, v60, v76                                // 000000003CF4: 0A78993C
	v_mul_f32_e32 v61, v61, v77                                // 000000003CF8: 0A7A9B3D
	v_mul_f32_e32 v62, v62, v78                                // 000000003CFC: 0A7C9D3E
	v_mul_f32_e32 v63, v63, v79                                // 000000003D00: 0A7E9F3F
	v_mul_f32_e64 v4, -v64, s6                                 // 000000003D04: D1050004 20000D40
	v_mul_f32_e64 v5, -v65, s6                                 // 000000003D0C: D1050005 20000D41
	v_mul_f32_e64 v6, -v66, s6                                 // 000000003D14: D1050006 20000D42
	v_mul_f32_e64 v7, -v67, s6                                 // 000000003D1C: D1050007 20000D43
	v_exp_f32_e32 v4, v4                                       // 000000003D24: 7E084104
	v_exp_f32_e32 v5, v5                                       // 000000003D28: 7E0A4105
	v_exp_f32_e32 v6, v6                                       // 000000003D2C: 7E0C4106
	v_exp_f32_e32 v7, v7                                       // 000000003D30: 7E0E4107
	v_add_f32_e64 v4, v4, 1.0                                  // 000000003D34: D1010004 0001E504
	v_add_f32_e64 v5, v5, 1.0                                  // 000000003D3C: D1010005 0001E505
	v_add_f32_e64 v6, v6, 1.0                                  // 000000003D44: D1010006 0001E506
	v_add_f32_e64 v7, v7, 1.0                                  // 000000003D4C: D1010007 0001E507
	v_rcp_f32_e32 v4, v4                                       // 000000003D54: 7E084504
	v_rcp_f32_e32 v5, v5                                       // 000000003D58: 7E0A4505
	v_rcp_f32_e32 v6, v6                                       // 000000003D5C: 7E0C4506
	v_rcp_f32_e32 v7, v7                                       // 000000003D60: 7E0E4507
	v_mul_f32_e32 v64, v64, v4                                 // 000000003D64: 0A800940
	v_mul_f32_e32 v65, v65, v5                                 // 000000003D68: 0A820B41
	v_mul_f32_e32 v66, v66, v6                                 // 000000003D6C: 0A840D42
	v_mul_f32_e32 v67, v67, v7                                 // 000000003D70: 0A860F43
	v_mul_f32_e32 v64, v64, v80                                // 000000003D74: 0A80A140
	v_mul_f32_e32 v65, v65, v81                                // 000000003D78: 0A82A341
	v_mul_f32_e32 v66, v66, v82                                // 000000003D7C: 0A84A542
	v_mul_f32_e32 v67, v67, v83                                // 000000003D80: 0A86A743
	v_mul_f32_e64 v4, -v68, s6                                 // 000000003D84: D1050004 20000D44
	v_mul_f32_e64 v5, -v69, s6                                 // 000000003D8C: D1050005 20000D45
	v_mul_f32_e64 v6, -v70, s6                                 // 000000003D94: D1050006 20000D46
	v_mul_f32_e64 v7, -v71, s6                                 // 000000003D9C: D1050007 20000D47
	v_exp_f32_e32 v4, v4                                       // 000000003DA4: 7E084104
	v_exp_f32_e32 v5, v5                                       // 000000003DA8: 7E0A4105
	v_exp_f32_e32 v6, v6                                       // 000000003DAC: 7E0C4106
	v_exp_f32_e32 v7, v7                                       // 000000003DB0: 7E0E4107
	v_add_f32_e64 v4, v4, 1.0                                  // 000000003DB4: D1010004 0001E504
	v_add_f32_e64 v5, v5, 1.0                                  // 000000003DBC: D1010005 0001E505
	v_add_f32_e64 v6, v6, 1.0                                  // 000000003DC4: D1010006 0001E506
	v_add_f32_e64 v7, v7, 1.0                                  // 000000003DCC: D1010007 0001E507
	v_rcp_f32_e32 v4, v4                                       // 000000003DD4: 7E084504
	v_rcp_f32_e32 v5, v5                                       // 000000003DD8: 7E0A4505
	v_rcp_f32_e32 v6, v6                                       // 000000003DDC: 7E0C4506
	v_rcp_f32_e32 v7, v7                                       // 000000003DE0: 7E0E4507
	v_mul_f32_e32 v68, v68, v4                                 // 000000003DE4: 0A880944
	v_mul_f32_e32 v69, v69, v5                                 // 000000003DE8: 0A8A0B45
	v_mul_f32_e32 v70, v70, v6                                 // 000000003DEC: 0A8C0D46
	v_mul_f32_e32 v71, v71, v7                                 // 000000003DF0: 0A8E0F47
	v_mul_f32_e32 v68, v68, v84                                // 000000003DF4: 0A88A944
	v_mul_f32_e32 v69, v69, v85                                // 000000003DF8: 0A8AAB45
	v_mul_f32_e32 v70, v70, v86                                // 000000003DFC: 0A8CAD46
	v_mul_f32_e32 v71, v71, v87                                // 000000003E00: 0A8EAF47

0000000000003e04 <label_0501>:
	v_cmp_u_f32_e64 s[46:47], v56, v56                         // 000000003E04: D048002E 00027138
	v_add3_u32 v16, v56, v19, 1                                // 000000003E0C: D1FF0010 02062738
	v_cndmask_b32_e64 v4, v16, v18, s[46:47]                   // 000000003E14: D1000004 00BA2510
	v_cmp_u_f32_e64 s[46:47], v57, v57                         // 000000003E1C: D048002E 00027339
	v_add3_u32 v16, v57, v19, 1                                // 000000003E24: D1FF0010 02062739
	v_cndmask_b32_e64 v5, v16, v18, s[46:47]                   // 000000003E2C: D1000005 00BA2510
	v_perm_b32 v56, v5, v4, s52                                // 000000003E34: D1ED0038 00D20905
	v_cmp_u_f32_e64 s[46:47], v58, v58                         // 000000003E3C: D048002E 0002753A
	v_add3_u32 v16, v58, v19, 1                                // 000000003E44: D1FF0010 0206273A
	v_cndmask_b32_e64 v4, v16, v18, s[46:47]                   // 000000003E4C: D1000004 00BA2510
	v_cmp_u_f32_e64 s[46:47], v59, v59                         // 000000003E54: D048002E 0002773B
	v_add3_u32 v16, v59, v19, 1                                // 000000003E5C: D1FF0010 0206273B
	v_cndmask_b32_e64 v5, v16, v18, s[46:47]                   // 000000003E64: D1000005 00BA2510
	v_perm_b32 v57, v5, v4, s52                                // 000000003E6C: D1ED0039 00D20905
	v_cmp_u_f32_e64 s[46:47], v60, v60                         // 000000003E74: D048002E 0002793C
	v_add3_u32 v16, v60, v19, 1                                // 000000003E7C: D1FF0010 0206273C
	v_cndmask_b32_e64 v4, v16, v18, s[46:47]                   // 000000003E84: D1000004 00BA2510
	v_cmp_u_f32_e64 s[46:47], v61, v61                         // 000000003E8C: D048002E 00027B3D
	v_add3_u32 v16, v61, v19, 1                                // 000000003E94: D1FF0010 0206273D
	v_cndmask_b32_e64 v5, v16, v18, s[46:47]                   // 000000003E9C: D1000005 00BA2510
	v_perm_b32 v58, v5, v4, s52                                // 000000003EA4: D1ED003A 00D20905
	v_cmp_u_f32_e64 s[46:47], v62, v62                         // 000000003EAC: D048002E 00027D3E
	v_add3_u32 v16, v62, v19, 1                                // 000000003EB4: D1FF0010 0206273E
	v_cndmask_b32_e64 v4, v16, v18, s[46:47]                   // 000000003EBC: D1000004 00BA2510
	v_cmp_u_f32_e64 s[46:47], v63, v63                         // 000000003EC4: D048002E 00027F3F
	v_add3_u32 v16, v63, v19, 1                                // 000000003ECC: D1FF0010 0206273F
	v_cndmask_b32_e64 v5, v16, v18, s[46:47]                   // 000000003ED4: D1000005 00BA2510
	v_perm_b32 v59, v5, v4, s52                                // 000000003EDC: D1ED003B 00D20905
	v_cmp_u_f32_e64 s[46:47], v64, v64                         // 000000003EE4: D048002E 00028140
	v_add3_u32 v16, v64, v19, 1                                // 000000003EEC: D1FF0010 02062740
	v_cndmask_b32_e64 v4, v16, v18, s[46:47]                   // 000000003EF4: D1000004 00BA2510
	v_cmp_u_f32_e64 s[46:47], v65, v65                         // 000000003EFC: D048002E 00028341
	v_add3_u32 v16, v65, v19, 1                                // 000000003F04: D1FF0010 02062741
	v_cndmask_b32_e64 v5, v16, v18, s[46:47]                   // 000000003F0C: D1000005 00BA2510
	v_perm_b32 v60, v5, v4, s52                                // 000000003F14: D1ED003C 00D20905
	v_cmp_u_f32_e64 s[46:47], v66, v66                         // 000000003F1C: D048002E 00028542
	v_add3_u32 v16, v66, v19, 1                                // 000000003F24: D1FF0010 02062742
	v_cndmask_b32_e64 v4, v16, v18, s[46:47]                   // 000000003F2C: D1000004 00BA2510
	v_cmp_u_f32_e64 s[46:47], v67, v67                         // 000000003F34: D048002E 00028743
	v_add3_u32 v16, v67, v19, 1                                // 000000003F3C: D1FF0010 02062743
	v_cndmask_b32_e64 v5, v16, v18, s[46:47]                   // 000000003F44: D1000005 00BA2510
	v_perm_b32 v61, v5, v4, s52                                // 000000003F4C: D1ED003D 00D20905
	v_cmp_u_f32_e64 s[46:47], v68, v68                         // 000000003F54: D048002E 00028944
	v_add3_u32 v16, v68, v19, 1                                // 000000003F5C: D1FF0010 02062744
	v_cndmask_b32_e64 v4, v16, v18, s[46:47]                   // 000000003F64: D1000004 00BA2510
	v_cmp_u_f32_e64 s[46:47], v69, v69                         // 000000003F6C: D048002E 00028B45
	v_add3_u32 v16, v69, v19, 1                                // 000000003F74: D1FF0010 02062745
	v_cndmask_b32_e64 v5, v16, v18, s[46:47]                   // 000000003F7C: D1000005 00BA2510
	v_perm_b32 v62, v5, v4, s52                                // 000000003F84: D1ED003E 00D20905
	v_cmp_u_f32_e64 s[46:47], v70, v70                         // 000000003F8C: D048002E 00028D46
	v_add3_u32 v16, v70, v19, 1                                // 000000003F94: D1FF0010 02062746
	v_cndmask_b32_e64 v4, v16, v18, s[46:47]                   // 000000003F9C: D1000004 00BA2510
	v_cmp_u_f32_e64 s[46:47], v71, v71                         // 000000003FA4: D048002E 00028F47
	v_add3_u32 v16, v71, v19, 1                                // 000000003FAC: D1FF0010 02062747
	v_cndmask_b32_e64 v5, v16, v18, s[46:47]                   // 000000003FB4: D1000005 00BA2510
	v_perm_b32 v63, v5, v4, s52                                // 000000003FBC: D1ED003F 00D20905
	ds_write_b64 v20, v[56:57]                                 // 000000003FC4: D89A0000 00003814
	ds_write_b64 v20, v[58:59] offset:2176                     // 000000003FCC: D89A0880 00003A14
	ds_write_b64 v20, v[60:61] offset:4352                     // 000000003FD4: D89A1100 00003C14
	ds_write_b64 v20, v[62:63] offset:6528                     // 000000003FDC: D89A1980 00003E14
	v_lshrrev_b32_e32 v4, 5, v0                                // 000000003FE4: 20080085
	v_xor_b32_e32 v5, 1, v4                                    // 000000003FE8: 2A0A0881
	s_mul_i32 s60, s65, 2                                      // 000000003FEC: 923C8241
	s_cmp_eq_u32 s88, 0                                        // 000000003FF0: BF068058
	s_cselect_b32 s61, 1, 4                                    // 000000003FF4: 853D8481
	s_mul_i32 s60, s61, s60                                    // 000000003FF8: 923C3C3D
	v_readlane_b32 s82, v3, 0                                  // 000000003FFC: D2890052 00010103
	s_lshr_b32 s61, s82, 24                                    // 000000004004: 8F3D9852
	s_and_b32 s82, s82, 0xffffff                               // 000000004008: 8652FF52 00FFFFFF
	s_mul_i32 s82, s82, s71                                    // 000000004010: 92524752
	s_mul_i32 s61, s60, s61                                    // 000000004014: 923D3D3C
	s_add_u32 s82, s82, s61                                    // 000000004018: 80523D52
	v_mul_lo_u32 v6, v5, s82                                   // 00000000401C: D2850006 0000A505
	v_readlane_b32 s82, v3, 1                                  // 000000004024: D2890052 00010303
	s_lshr_b32 s61, s82, 24                                    // 00000000402C: 8F3D9852
	s_and_b32 s82, s82, 0xffffff                               // 000000004030: 8652FF52 00FFFFFF
	s_mul_i32 s82, s82, s71                                    // 000000004038: 92524752
	s_mul_i32 s61, s60, s61                                    // 00000000403C: 923D3D3C
	s_add_u32 s82, s82, s61                                    // 000000004040: 80523D52
	v_mul_lo_u32 v7, v4, s82                                   // 000000004044: D2850007 0000A504
	v_add_u32_e32 v44, v6, v7                                  // 00000000404C: 68580F06
	v_readlane_b32 s82, v3, 2                                  // 000000004050: D2890052 00010503
	s_lshr_b32 s61, s82, 24                                    // 000000004058: 8F3D9852
	s_and_b32 s82, s82, 0xffffff                               // 00000000405C: 8652FF52 00FFFFFF
	s_mul_i32 s82, s82, s71                                    // 000000004064: 92524752
	s_mul_i32 s61, s60, s61                                    // 000000004068: 923D3D3C
	s_add_u32 s82, s82, s61                                    // 00000000406C: 80523D52
	v_mul_lo_u32 v6, v5, s82                                   // 000000004070: D2850006 0000A505
	v_readlane_b32 s82, v3, 3                                  // 000000004078: D2890052 00010703
	s_lshr_b32 s61, s82, 24                                    // 000000004080: 8F3D9852
	s_and_b32 s82, s82, 0xffffff                               // 000000004084: 8652FF52 00FFFFFF
	s_mul_i32 s82, s82, s71                                    // 00000000408C: 92524752
	s_mul_i32 s61, s60, s61                                    // 000000004090: 923D3D3C
	s_add_u32 s82, s82, s61                                    // 000000004094: 80523D52
	v_mul_lo_u32 v7, v4, s82                                   // 000000004098: D2850007 0000A504
	v_add_u32_e32 v45, v6, v7                                  // 0000000040A0: 685A0F06
	v_readlane_b32 s82, v3, 4                                  // 0000000040A4: D2890052 00010903
	s_lshr_b32 s61, s82, 24                                    // 0000000040AC: 8F3D9852
	s_and_b32 s82, s82, 0xffffff                               // 0000000040B0: 8652FF52 00FFFFFF
	s_mul_i32 s82, s82, s71                                    // 0000000040B8: 92524752
	s_mul_i32 s61, s60, s61                                    // 0000000040BC: 923D3D3C
	s_add_u32 s82, s82, s61                                    // 0000000040C0: 80523D52
	v_mul_lo_u32 v6, v5, s82                                   // 0000000040C4: D2850006 0000A505
	v_readlane_b32 s82, v3, 5                                  // 0000000040CC: D2890052 00010B03
	s_lshr_b32 s61, s82, 24                                    // 0000000040D4: 8F3D9852
	s_and_b32 s82, s82, 0xffffff                               // 0000000040D8: 8652FF52 00FFFFFF
	s_mul_i32 s82, s82, s71                                    // 0000000040E0: 92524752
	s_mul_i32 s61, s60, s61                                    // 0000000040E4: 923D3D3C
	s_add_u32 s82, s82, s61                                    // 0000000040E8: 80523D52
	v_mul_lo_u32 v7, v4, s82                                   // 0000000040EC: D2850007 0000A504
	v_add_u32_e32 v46, v6, v7                                  // 0000000040F4: 685C0F06
	v_readlane_b32 s82, v3, 6                                  // 0000000040F8: D2890052 00010D03
	s_lshr_b32 s61, s82, 24                                    // 000000004100: 8F3D9852
	s_and_b32 s82, s82, 0xffffff                               // 000000004104: 8652FF52 00FFFFFF
	s_mul_i32 s82, s82, s71                                    // 00000000410C: 92524752
	s_mul_i32 s61, s60, s61                                    // 000000004110: 923D3D3C
	s_add_u32 s82, s82, s61                                    // 000000004114: 80523D52
	v_mul_lo_u32 v6, v5, s82                                   // 000000004118: D2850006 0000A505
	v_readlane_b32 s82, v3, 7                                  // 000000004120: D2890052 00010F03
	s_lshr_b32 s61, s82, 24                                    // 000000004128: 8F3D9852
	s_and_b32 s82, s82, 0xffffff                               // 00000000412C: 8652FF52 00FFFFFF
	s_mul_i32 s82, s82, s71                                    // 000000004134: 92524752
	s_mul_i32 s61, s60, s61                                    // 000000004138: 923D3D3C
	s_add_u32 s82, s82, s61                                    // 00000000413C: 80523D52
	v_mul_lo_u32 v7, v4, s82                                   // 000000004140: D2850007 0000A504
	v_add_u32_e32 v47, v6, v7                                  // 000000004148: 685E0F06
	v_readlane_b32 s82, v3, 8                                  // 00000000414C: D2890052 00011103
	s_lshr_b32 s61, s82, 24                                    // 000000004154: 8F3D9852
	s_and_b32 s82, s82, 0xffffff                               // 000000004158: 8652FF52 00FFFFFF
	s_mul_i32 s82, s82, s71                                    // 000000004160: 92524752
	s_mul_i32 s61, s60, s61                                    // 000000004164: 923D3D3C
	s_add_u32 s82, s82, s61                                    // 000000004168: 80523D52
	v_mul_lo_u32 v6, v5, s82                                   // 00000000416C: D2850006 0000A505
	v_readlane_b32 s82, v3, 9                                  // 000000004174: D2890052 00011303
	s_lshr_b32 s61, s82, 24                                    // 00000000417C: 8F3D9852
	s_and_b32 s82, s82, 0xffffff                               // 000000004180: 8652FF52 00FFFFFF
	s_mul_i32 s82, s82, s71                                    // 000000004188: 92524752
	s_mul_i32 s61, s60, s61                                    // 00000000418C: 923D3D3C
	s_add_u32 s82, s82, s61                                    // 000000004190: 80523D52
	v_mul_lo_u32 v7, v4, s82                                   // 000000004194: D2850007 0000A504
	v_add_u32_e32 v48, v6, v7                                  // 00000000419C: 68600F06
	v_readlane_b32 s82, v3, 10                                 // 0000000041A0: D2890052 00011503
	s_lshr_b32 s61, s82, 24                                    // 0000000041A8: 8F3D9852
	s_and_b32 s82, s82, 0xffffff                               // 0000000041AC: 8652FF52 00FFFFFF
	s_mul_i32 s82, s82, s71                                    // 0000000041B4: 92524752
	s_mul_i32 s61, s60, s61                                    // 0000000041B8: 923D3D3C
	s_add_u32 s82, s82, s61                                    // 0000000041BC: 80523D52
	v_mul_lo_u32 v6, v5, s82                                   // 0000000041C0: D2850006 0000A505
	v_readlane_b32 s82, v3, 11                                 // 0000000041C8: D2890052 00011703
	s_lshr_b32 s61, s82, 24                                    // 0000000041D0: 8F3D9852
	s_and_b32 s82, s82, 0xffffff                               // 0000000041D4: 8652FF52 00FFFFFF
	s_mul_i32 s82, s82, s71                                    // 0000000041DC: 92524752
	s_mul_i32 s61, s60, s61                                    // 0000000041E0: 923D3D3C
	s_add_u32 s82, s82, s61                                    // 0000000041E4: 80523D52
	v_mul_lo_u32 v7, v4, s82                                   // 0000000041E8: D2850007 0000A504
	v_add_u32_e32 v49, v6, v7                                  // 0000000041F0: 68620F06
	v_readlane_b32 s82, v3, 12                                 // 0000000041F4: D2890052 00011903
	s_lshr_b32 s61, s82, 24                                    // 0000000041FC: 8F3D9852
	s_and_b32 s82, s82, 0xffffff                               // 000000004200: 8652FF52 00FFFFFF
	s_mul_i32 s82, s82, s71                                    // 000000004208: 92524752
	s_mul_i32 s61, s60, s61                                    // 00000000420C: 923D3D3C
	s_add_u32 s82, s82, s61                                    // 000000004210: 80523D52
	v_mul_lo_u32 v6, v5, s82                                   // 000000004214: D2850006 0000A505
	v_readlane_b32 s82, v3, 13                                 // 00000000421C: D2890052 00011B03
	s_lshr_b32 s61, s82, 24                                    // 000000004224: 8F3D9852
	s_and_b32 s82, s82, 0xffffff                               // 000000004228: 8652FF52 00FFFFFF
	s_mul_i32 s82, s82, s71                                    // 000000004230: 92524752
	s_mul_i32 s61, s60, s61                                    // 000000004234: 923D3D3C
	s_add_u32 s82, s82, s61                                    // 000000004238: 80523D52
	v_mul_lo_u32 v7, v4, s82                                   // 00000000423C: D2850007 0000A504
	v_add_u32_e32 v50, v6, v7                                  // 000000004244: 68640F06
	v_readlane_b32 s82, v3, 14                                 // 000000004248: D2890052 00011D03
	s_lshr_b32 s61, s82, 24                                    // 000000004250: 8F3D9852
	s_and_b32 s82, s82, 0xffffff                               // 000000004254: 8652FF52 00FFFFFF
	s_mul_i32 s82, s82, s71                                    // 00000000425C: 92524752
	s_mul_i32 s61, s60, s61                                    // 000000004260: 923D3D3C
	s_add_u32 s82, s82, s61                                    // 000000004264: 80523D52
	v_mul_lo_u32 v6, v5, s82                                   // 000000004268: D2850006 0000A505
	v_readlane_b32 s82, v3, 15                                 // 000000004270: D2890052 00011F03
	s_lshr_b32 s61, s82, 24                                    // 000000004278: 8F3D9852
	s_and_b32 s82, s82, 0xffffff                               // 00000000427C: 8652FF52 00FFFFFF
	s_mul_i32 s82, s82, s71                                    // 000000004284: 92524752
	s_mul_i32 s61, s60, s61                                    // 000000004288: 923D3D3C
	s_add_u32 s82, s82, s61                                    // 00000000428C: 80523D52
	v_mul_lo_u32 v7, v4, s82                                   // 000000004290: D2850007 0000A504
	v_add_u32_e32 v51, v6, v7                                  // 000000004298: 68660F06
	v_and_b32_e32 v4, 31, v0                                   // 00000000429C: 2608009F
	v_lshrrev_b32_e32 v4, 1, v4                                // 0000000042A0: 20080881
	s_cmp_eq_u32 s88, 0                                        // 0000000042A4: BF068058
	s_cselect_b32 s61, 2, 4                                    // 0000000042A8: 853D8482
	v_mul_lo_u32 v4, v4, s61                                   // 0000000042AC: D2850004 00007B04
	v_and_b32_e64 v5, v0, 1                                    // 0000000042B4: D1130005 00010300
	v_add_u32_e32 v4, v4, v5                                   // 0000000042BC: 68080B04
	v_lshlrev_b32_e32 v4, 2, v4                                // 0000000042C0: 24080882
	v_add_u32_e32 v44, v44, v4                                 // 0000000042C4: 6858092C
	v_add_u32_e32 v45, v45, v4                                 // 0000000042C8: 685A092D
	v_add_u32_e32 v46, v46, v4                                 // 0000000042CC: 685C092E
	v_add_u32_e32 v47, v47, v4                                 // 0000000042D0: 685E092F
	v_add_u32_e32 v48, v48, v4                                 // 0000000042D4: 68600930
	v_add_u32_e32 v49, v49, v4                                 // 0000000042D8: 68620931
	v_add_u32_e32 v50, v50, v4                                 // 0000000042DC: 68640932
	v_add_u32_e32 v51, v51, v4                                 // 0000000042E0: 68660933
	s_waitcnt lgkmcnt(0)                                       // 0000000042E4: BF8CC07F
	s_barrier                                                  // 0000000042E8: BF8A0000
	ds_read_b32 v56, v21                                       // 0000000042EC: D86C0000 38000015
	ds_read_b32 v57, v21 offset:64                             // 0000000042F4: D86C0040 39000015
	ds_read_b32 v58, v21 offset:2176                           // 0000000042FC: D86C0880 3A000015
	ds_read_b32 v59, v21 offset:2240                           // 000000004304: D86C08C0 3B000015
	ds_read_b32 v60, v21 offset:4352                           // 00000000430C: D86C1100 3C000015
	ds_read_b32 v61, v21 offset:4416                           // 000000004314: D86C1140 3D000015
	ds_read_b32 v62, v21 offset:6528                           // 00000000431C: D86C1980 3E000015
	ds_read_b32 v63, v21 offset:6592                           // 000000004324: D86C19C0 3F000015
	s_waitcnt lgkmcnt(0)                                       // 00000000432C: BF8CC07F
	s_mov_b32 s36, -1                                          // 000000004330: BEA400C1
	s_mov_b32 s37, -1                                          // 000000004334: BEA500C1
	v_mov_b32_e32 v7, 0                                        // 000000004338: 7E0E0280
	s_or_b32 s9, s9, 0x40000                                   // 00000000433C: 8709FF09 00040000
	s_mov_b64 exec, s[36:37]                                   // 000000004344: BEFE0124
	v_mov_b32_e32 v6, v44                                      // 000000004348: 7E0C032C
	s_mov_b64 s[60:61], 0                                      // 00000000434C: BEBC0180
	v_readlane_b32 s82, v3, 0                                  // 000000004350: D2890052 00010103
	s_and_b32 s82, s82, 0xffffff                               // 000000004358: 8652FF52 00FFFFFF
	s_cmp_lt_u32 s82, s66                                      // 000000004360: BF0A4252
	s_cselect_b32 s20, s36, s60                                // 000000004364: 85143C24
	v_readlane_b32 s82, v3, 1                                  // 000000004368: D2890052 00010303
	s_and_b32 s82, s82, 0xffffff                               // 000000004370: 8652FF52 00FFFFFF
	s_cmp_lt_u32 s82, s66                                      // 000000004378: BF0A4252
	s_cselect_b32 s21, s36, s60                                // 00000000437C: 85153C24
	s_mov_b64 exec, s[20:21]                                   // 000000004380: BEFE0114
	buffer_store_dword v56, v6, s[8:11], 0 offen               // 000000004384: E0701000 80023806
	s_mov_b64 exec, s[36:37]                                   // 00000000438C: BEFE0124
	v_mov_b32_e32 v6, v45                                      // 000000004390: 7E0C032D
	s_mov_b64 s[60:61], 0                                      // 000000004394: BEBC0180
	v_readlane_b32 s82, v3, 2                                  // 000000004398: D2890052 00010503
	s_and_b32 s82, s82, 0xffffff                               // 0000000043A0: 8652FF52 00FFFFFF
	s_cmp_lt_u32 s82, s66                                      // 0000000043A8: BF0A4252
	s_cselect_b32 s20, s36, s60                                // 0000000043AC: 85143C24
	v_readlane_b32 s82, v3, 3                                  // 0000000043B0: D2890052 00010703
	s_and_b32 s82, s82, 0xffffff                               // 0000000043B8: 8652FF52 00FFFFFF
	s_cmp_lt_u32 s82, s66                                      // 0000000043C0: BF0A4252
	s_cselect_b32 s21, s36, s60                                // 0000000043C4: 85153C24
	s_mov_b64 exec, s[20:21]                                   // 0000000043C8: BEFE0114
	buffer_store_dword v57, v6, s[8:11], 0 offen               // 0000000043CC: E0701000 80023906
	s_mov_b64 exec, s[36:37]                                   // 0000000043D4: BEFE0124
	v_mov_b32_e32 v6, v46                                      // 0000000043D8: 7E0C032E
	s_mov_b64 s[60:61], 0                                      // 0000000043DC: BEBC0180
	v_readlane_b32 s82, v3, 4                                  // 0000000043E0: D2890052 00010903
	s_and_b32 s82, s82, 0xffffff                               // 0000000043E8: 8652FF52 00FFFFFF
	s_cmp_lt_u32 s82, s66                                      // 0000000043F0: BF0A4252
	s_cselect_b32 s20, s36, s60                                // 0000000043F4: 85143C24
	v_readlane_b32 s82, v3, 5                                  // 0000000043F8: D2890052 00010B03
	s_and_b32 s82, s82, 0xffffff                               // 000000004400: 8652FF52 00FFFFFF
	s_cmp_lt_u32 s82, s66                                      // 000000004408: BF0A4252
	s_cselect_b32 s21, s36, s60                                // 00000000440C: 85153C24
	s_mov_b64 exec, s[20:21]                                   // 000000004410: BEFE0114
	buffer_store_dword v58, v6, s[8:11], 0 offen               // 000000004414: E0701000 80023A06
	s_mov_b64 exec, s[36:37]                                   // 00000000441C: BEFE0124
	v_mov_b32_e32 v6, v47                                      // 000000004420: 7E0C032F
	s_mov_b64 s[60:61], 0                                      // 000000004424: BEBC0180
	v_readlane_b32 s82, v3, 6                                  // 000000004428: D2890052 00010D03
	s_and_b32 s82, s82, 0xffffff                               // 000000004430: 8652FF52 00FFFFFF
	s_cmp_lt_u32 s82, s66                                      // 000000004438: BF0A4252
	s_cselect_b32 s20, s36, s60                                // 00000000443C: 85143C24
	v_readlane_b32 s82, v3, 7                                  // 000000004440: D2890052 00010F03
	s_and_b32 s82, s82, 0xffffff                               // 000000004448: 8652FF52 00FFFFFF
	s_cmp_lt_u32 s82, s66                                      // 000000004450: BF0A4252
	s_cselect_b32 s21, s36, s60                                // 000000004454: 85153C24
	s_mov_b64 exec, s[20:21]                                   // 000000004458: BEFE0114
	buffer_store_dword v59, v6, s[8:11], 0 offen               // 00000000445C: E0701000 80023B06
	s_mov_b64 exec, s[36:37]                                   // 000000004464: BEFE0124
	v_mov_b32_e32 v6, v48                                      // 000000004468: 7E0C0330
	s_mov_b64 s[60:61], 0                                      // 00000000446C: BEBC0180
	v_readlane_b32 s82, v3, 8                                  // 000000004470: D2890052 00011103
	s_and_b32 s82, s82, 0xffffff                               // 000000004478: 8652FF52 00FFFFFF
	s_cmp_lt_u32 s82, s66                                      // 000000004480: BF0A4252
	s_cselect_b32 s20, s36, s60                                // 000000004484: 85143C24
	v_readlane_b32 s82, v3, 9                                  // 000000004488: D2890052 00011303
	s_and_b32 s82, s82, 0xffffff                               // 000000004490: 8652FF52 00FFFFFF
	s_cmp_lt_u32 s82, s66                                      // 000000004498: BF0A4252
	s_cselect_b32 s21, s36, s60                                // 00000000449C: 85153C24
	s_mov_b64 exec, s[20:21]                                   // 0000000044A0: BEFE0114
	buffer_store_dword v60, v6, s[8:11], 0 offen               // 0000000044A4: E0701000 80023C06
	s_mov_b64 exec, s[36:37]                                   // 0000000044AC: BEFE0124
	v_mov_b32_e32 v6, v49                                      // 0000000044B0: 7E0C0331
	s_mov_b64 s[60:61], 0                                      // 0000000044B4: BEBC0180
	v_readlane_b32 s82, v3, 10                                 // 0000000044B8: D2890052 00011503
	s_and_b32 s82, s82, 0xffffff                               // 0000000044C0: 8652FF52 00FFFFFF
	s_cmp_lt_u32 s82, s66                                      // 0000000044C8: BF0A4252
	s_cselect_b32 s20, s36, s60                                // 0000000044CC: 85143C24
	v_readlane_b32 s82, v3, 11                                 // 0000000044D0: D2890052 00011703
	s_and_b32 s82, s82, 0xffffff                               // 0000000044D8: 8652FF52 00FFFFFF
	s_cmp_lt_u32 s82, s66                                      // 0000000044E0: BF0A4252
	s_cselect_b32 s21, s36, s60                                // 0000000044E4: 85153C24
	s_mov_b64 exec, s[20:21]                                   // 0000000044E8: BEFE0114
	buffer_store_dword v61, v6, s[8:11], 0 offen               // 0000000044EC: E0701000 80023D06
	s_mov_b64 exec, s[36:37]                                   // 0000000044F4: BEFE0124
	v_mov_b32_e32 v6, v50                                      // 0000000044F8: 7E0C0332
	s_mov_b64 s[60:61], 0                                      // 0000000044FC: BEBC0180
	v_readlane_b32 s82, v3, 12                                 // 000000004500: D2890052 00011903
	s_and_b32 s82, s82, 0xffffff                               // 000000004508: 8652FF52 00FFFFFF
	s_cmp_lt_u32 s82, s66                                      // 000000004510: BF0A4252
	s_cselect_b32 s20, s36, s60                                // 000000004514: 85143C24
	v_readlane_b32 s82, v3, 13                                 // 000000004518: D2890052 00011B03
	s_and_b32 s82, s82, 0xffffff                               // 000000004520: 8652FF52 00FFFFFF
	s_cmp_lt_u32 s82, s66                                      // 000000004528: BF0A4252
	s_cselect_b32 s21, s36, s60                                // 00000000452C: 85153C24
	s_mov_b64 exec, s[20:21]                                   // 000000004530: BEFE0114
	buffer_store_dword v62, v6, s[8:11], 0 offen               // 000000004534: E0701000 80023E06
	s_mov_b64 exec, s[36:37]                                   // 00000000453C: BEFE0124
	v_mov_b32_e32 v6, v51                                      // 000000004540: 7E0C0333
	s_mov_b64 s[60:61], 0                                      // 000000004544: BEBC0180
	v_readlane_b32 s82, v3, 14                                 // 000000004548: D2890052 00011D03
	s_and_b32 s82, s82, 0xffffff                               // 000000004550: 8652FF52 00FFFFFF
	s_cmp_lt_u32 s82, s66                                      // 000000004558: BF0A4252
	s_cselect_b32 s20, s36, s60                                // 00000000455C: 85143C24
	v_readlane_b32 s82, v3, 15                                 // 000000004560: D2890052 00011F03
	s_and_b32 s82, s82, 0xffffff                               // 000000004568: 8652FF52 00FFFFFF
	s_cmp_lt_u32 s82, s66                                      // 000000004570: BF0A4252
	s_cselect_b32 s21, s36, s60                                // 000000004574: 85153C24
	s_mov_b64 exec, s[20:21]                                   // 000000004578: BEFE0114
	buffer_store_dword v63, v6, s[8:11], 0 offen               // 00000000457C: E0701000 80023F06
	s_mov_b64 exec, s[36:37]                                   // 000000004584: BEFE0124
	s_branch label_1270                                        // 000000004588: BF820B8A

000000000000458c <label_06E3>:
	ds_write_b64 v20, v[56:57]                                 // 00000000458C: D89A0000 00003814
	ds_write_b64 v20, v[60:61] offset:2176                     // 000000004594: D89A0880 00003C14
	ds_write_b64 v20, v[64:65] offset:4352                     // 00000000459C: D89A1100 00004014
	ds_write_b64 v20, v[68:69] offset:6528                     // 0000000045A4: D89A1980 00004414
	v_lshrrev_b32_e32 v4, 5, v0                                // 0000000045AC: 20080085
	v_xor_b32_e32 v5, 1, v4                                    // 0000000045B0: 2A0A0881
	s_mul_i32 s60, s65, 2                                      // 0000000045B4: 923C8241
	s_cmp_eq_u32 s88, 0                                        // 0000000045B8: BF068058
	s_cselect_b32 s61, 1, 4                                    // 0000000045BC: 853D8481
	s_mul_i32 s60, s61, s60                                    // 0000000045C0: 923C3C3D
	v_readlane_b32 s82, v3, 0                                  // 0000000045C4: D2890052 00010103
	s_lshr_b32 s61, s82, 24                                    // 0000000045CC: 8F3D9852
	s_and_b32 s82, s82, 0xffffff                               // 0000000045D0: 8652FF52 00FFFFFF
	s_mul_i32 s82, s82, s71                                    // 0000000045D8: 92524752
	s_mul_i32 s61, s60, s61                                    // 0000000045DC: 923D3D3C
	s_add_u32 s82, s82, s61                                    // 0000000045E0: 80523D52
	v_mul_lo_u32 v6, v5, s82                                   // 0000000045E4: D2850006 0000A505
	v_readlane_b32 s82, v3, 1                                  // 0000000045EC: D2890052 00010303
	s_lshr_b32 s61, s82, 24                                    // 0000000045F4: 8F3D9852
	s_and_b32 s82, s82, 0xffffff                               // 0000000045F8: 8652FF52 00FFFFFF
	s_mul_i32 s82, s82, s71                                    // 000000004600: 92524752
	s_mul_i32 s61, s60, s61                                    // 000000004604: 923D3D3C
	s_add_u32 s82, s82, s61                                    // 000000004608: 80523D52
	v_mul_lo_u32 v7, v4, s82                                   // 00000000460C: D2850007 0000A504
	v_add_u32_e32 v44, v6, v7                                  // 000000004614: 68580F06
	v_readlane_b32 s82, v3, 2                                  // 000000004618: D2890052 00010503
	s_lshr_b32 s61, s82, 24                                    // 000000004620: 8F3D9852
	s_and_b32 s82, s82, 0xffffff                               // 000000004624: 8652FF52 00FFFFFF
	s_mul_i32 s82, s82, s71                                    // 00000000462C: 92524752
	s_mul_i32 s61, s60, s61                                    // 000000004630: 923D3D3C
	s_add_u32 s82, s82, s61                                    // 000000004634: 80523D52
	v_mul_lo_u32 v6, v5, s82                                   // 000000004638: D2850006 0000A505
	v_readlane_b32 s82, v3, 3                                  // 000000004640: D2890052 00010703
	s_lshr_b32 s61, s82, 24                                    // 000000004648: 8F3D9852
	s_and_b32 s82, s82, 0xffffff                               // 00000000464C: 8652FF52 00FFFFFF
	s_mul_i32 s82, s82, s71                                    // 000000004654: 92524752
	s_mul_i32 s61, s60, s61                                    // 000000004658: 923D3D3C
	s_add_u32 s82, s82, s61                                    // 00000000465C: 80523D52
	v_mul_lo_u32 v7, v4, s82                                   // 000000004660: D2850007 0000A504
	v_add_u32_e32 v45, v6, v7                                  // 000000004668: 685A0F06
	v_readlane_b32 s82, v3, 4                                  // 00000000466C: D2890052 00010903
	s_lshr_b32 s61, s82, 24                                    // 000000004674: 8F3D9852
	s_and_b32 s82, s82, 0xffffff                               // 000000004678: 8652FF52 00FFFFFF
	s_mul_i32 s82, s82, s71                                    // 000000004680: 92524752
	s_mul_i32 s61, s60, s61                                    // 000000004684: 923D3D3C
	s_add_u32 s82, s82, s61                                    // 000000004688: 80523D52
	v_mul_lo_u32 v6, v5, s82                                   // 00000000468C: D2850006 0000A505
	v_readlane_b32 s82, v3, 5                                  // 000000004694: D2890052 00010B03
	s_lshr_b32 s61, s82, 24                                    // 00000000469C: 8F3D9852
	s_and_b32 s82, s82, 0xffffff                               // 0000000046A0: 8652FF52 00FFFFFF
	s_mul_i32 s82, s82, s71                                    // 0000000046A8: 92524752
	s_mul_i32 s61, s60, s61                                    // 0000000046AC: 923D3D3C
	s_add_u32 s82, s82, s61                                    // 0000000046B0: 80523D52
	v_mul_lo_u32 v7, v4, s82                                   // 0000000046B4: D2850007 0000A504
	v_add_u32_e32 v46, v6, v7                                  // 0000000046BC: 685C0F06
	v_readlane_b32 s82, v3, 6                                  // 0000000046C0: D2890052 00010D03
	s_lshr_b32 s61, s82, 24                                    // 0000000046C8: 8F3D9852
	s_and_b32 s82, s82, 0xffffff                               // 0000000046CC: 8652FF52 00FFFFFF
	s_mul_i32 s82, s82, s71                                    // 0000000046D4: 92524752
	s_mul_i32 s61, s60, s61                                    // 0000000046D8: 923D3D3C
	s_add_u32 s82, s82, s61                                    // 0000000046DC: 80523D52
	v_mul_lo_u32 v6, v5, s82                                   // 0000000046E0: D2850006 0000A505
	v_readlane_b32 s82, v3, 7                                  // 0000000046E8: D2890052 00010F03
	s_lshr_b32 s61, s82, 24                                    // 0000000046F0: 8F3D9852
	s_and_b32 s82, s82, 0xffffff                               // 0000000046F4: 8652FF52 00FFFFFF
	s_mul_i32 s82, s82, s71                                    // 0000000046FC: 92524752
	s_mul_i32 s61, s60, s61                                    // 000000004700: 923D3D3C
	s_add_u32 s82, s82, s61                                    // 000000004704: 80523D52
	v_mul_lo_u32 v7, v4, s82                                   // 000000004708: D2850007 0000A504
	v_add_u32_e32 v47, v6, v7                                  // 000000004710: 685E0F06
	v_readlane_b32 s82, v3, 8                                  // 000000004714: D2890052 00011103
	s_lshr_b32 s61, s82, 24                                    // 00000000471C: 8F3D9852
	s_and_b32 s82, s82, 0xffffff                               // 000000004720: 8652FF52 00FFFFFF
	s_mul_i32 s82, s82, s71                                    // 000000004728: 92524752
	s_mul_i32 s61, s60, s61                                    // 00000000472C: 923D3D3C
	s_add_u32 s82, s82, s61                                    // 000000004730: 80523D52
	v_mul_lo_u32 v6, v5, s82                                   // 000000004734: D2850006 0000A505
	v_readlane_b32 s82, v3, 9                                  // 00000000473C: D2890052 00011303
	s_lshr_b32 s61, s82, 24                                    // 000000004744: 8F3D9852
	s_and_b32 s82, s82, 0xffffff                               // 000000004748: 8652FF52 00FFFFFF
	s_mul_i32 s82, s82, s71                                    // 000000004750: 92524752
	s_mul_i32 s61, s60, s61                                    // 000000004754: 923D3D3C
	s_add_u32 s82, s82, s61                                    // 000000004758: 80523D52
	v_mul_lo_u32 v7, v4, s82                                   // 00000000475C: D2850007 0000A504
	v_add_u32_e32 v48, v6, v7                                  // 000000004764: 68600F06
	v_readlane_b32 s82, v3, 10                                 // 000000004768: D2890052 00011503
	s_lshr_b32 s61, s82, 24                                    // 000000004770: 8F3D9852
	s_and_b32 s82, s82, 0xffffff                               // 000000004774: 8652FF52 00FFFFFF
	s_mul_i32 s82, s82, s71                                    // 00000000477C: 92524752
	s_mul_i32 s61, s60, s61                                    // 000000004780: 923D3D3C
	s_add_u32 s82, s82, s61                                    // 000000004784: 80523D52
	v_mul_lo_u32 v6, v5, s82                                   // 000000004788: D2850006 0000A505
	v_readlane_b32 s82, v3, 11                                 // 000000004790: D2890052 00011703
	s_lshr_b32 s61, s82, 24                                    // 000000004798: 8F3D9852
	s_and_b32 s82, s82, 0xffffff                               // 00000000479C: 8652FF52 00FFFFFF
	s_mul_i32 s82, s82, s71                                    // 0000000047A4: 92524752
	s_mul_i32 s61, s60, s61                                    // 0000000047A8: 923D3D3C
	s_add_u32 s82, s82, s61                                    // 0000000047AC: 80523D52
	v_mul_lo_u32 v7, v4, s82                                   // 0000000047B0: D2850007 0000A504
	v_add_u32_e32 v49, v6, v7                                  // 0000000047B8: 68620F06
	v_readlane_b32 s82, v3, 12                                 // 0000000047BC: D2890052 00011903
	s_lshr_b32 s61, s82, 24                                    // 0000000047C4: 8F3D9852
	s_and_b32 s82, s82, 0xffffff                               // 0000000047C8: 8652FF52 00FFFFFF
	s_mul_i32 s82, s82, s71                                    // 0000000047D0: 92524752
	s_mul_i32 s61, s60, s61                                    // 0000000047D4: 923D3D3C
	s_add_u32 s82, s82, s61                                    // 0000000047D8: 80523D52
	v_mul_lo_u32 v6, v5, s82                                   // 0000000047DC: D2850006 0000A505
	v_readlane_b32 s82, v3, 13                                 // 0000000047E4: D2890052 00011B03
	s_lshr_b32 s61, s82, 24                                    // 0000000047EC: 8F3D9852
	s_and_b32 s82, s82, 0xffffff                               // 0000000047F0: 8652FF52 00FFFFFF
	s_mul_i32 s82, s82, s71                                    // 0000000047F8: 92524752
	s_mul_i32 s61, s60, s61                                    // 0000000047FC: 923D3D3C
	s_add_u32 s82, s82, s61                                    // 000000004800: 80523D52
	v_mul_lo_u32 v7, v4, s82                                   // 000000004804: D2850007 0000A504
	v_add_u32_e32 v50, v6, v7                                  // 00000000480C: 68640F06
	v_readlane_b32 s82, v3, 14                                 // 000000004810: D2890052 00011D03
	s_lshr_b32 s61, s82, 24                                    // 000000004818: 8F3D9852
	s_and_b32 s82, s82, 0xffffff                               // 00000000481C: 8652FF52 00FFFFFF
	s_mul_i32 s82, s82, s71                                    // 000000004824: 92524752
	s_mul_i32 s61, s60, s61                                    // 000000004828: 923D3D3C
	s_add_u32 s82, s82, s61                                    // 00000000482C: 80523D52
	v_mul_lo_u32 v6, v5, s82                                   // 000000004830: D2850006 0000A505
	v_readlane_b32 s82, v3, 15                                 // 000000004838: D2890052 00011F03
	s_lshr_b32 s61, s82, 24                                    // 000000004840: 8F3D9852
	s_and_b32 s82, s82, 0xffffff                               // 000000004844: 8652FF52 00FFFFFF
	s_mul_i32 s82, s82, s71                                    // 00000000484C: 92524752
	s_mul_i32 s61, s60, s61                                    // 000000004850: 923D3D3C
	s_add_u32 s82, s82, s61                                    // 000000004854: 80523D52
	v_mul_lo_u32 v7, v4, s82                                   // 000000004858: D2850007 0000A504
	v_add_u32_e32 v51, v6, v7                                  // 000000004860: 68660F06
	v_and_b32_e32 v4, 31, v0                                   // 000000004864: 2608009F
	v_lshrrev_b32_e32 v4, 1, v4                                // 000000004868: 20080881
	s_cmp_eq_u32 s88, 0                                        // 00000000486C: BF068058
	s_cselect_b32 s61, 2, 4                                    // 000000004870: 853D8482
	v_mul_lo_u32 v4, v4, s61                                   // 000000004874: D2850004 00007B04
	v_and_b32_e64 v5, v0, 1                                    // 00000000487C: D1130005 00010300
	v_add_u32_e32 v4, v4, v5                                   // 000000004884: 68080B04
	v_lshlrev_b32_e32 v4, 2, v4                                // 000000004888: 24080882
	v_add_u32_e32 v44, v44, v4                                 // 00000000488C: 6858092C
	v_add_u32_e32 v45, v45, v4                                 // 000000004890: 685A092D
	v_add_u32_e32 v46, v46, v4                                 // 000000004894: 685C092E
	v_add_u32_e32 v47, v47, v4                                 // 000000004898: 685E092F
	v_add_u32_e32 v48, v48, v4                                 // 00000000489C: 68600930
	v_add_u32_e32 v49, v49, v4                                 // 0000000048A0: 68620931
	v_add_u32_e32 v50, v50, v4                                 // 0000000048A4: 68640932
	v_add_u32_e32 v51, v51, v4                                 // 0000000048A8: 68660933
	s_waitcnt lgkmcnt(0)                                       // 0000000048AC: BF8CC07F
	s_barrier                                                  // 0000000048B0: BF8A0000
	ds_read_b32 v56, v21                                       // 0000000048B4: D86C0000 38000015
	ds_read_b32 v57, v21 offset:64                             // 0000000048BC: D86C0040 39000015
	ds_read_b32 v60, v21 offset:2176                           // 0000000048C4: D86C0880 3C000015
	ds_read_b32 v61, v21 offset:2240                           // 0000000048CC: D86C08C0 3D000015
	ds_read_b32 v64, v21 offset:4352                           // 0000000048D4: D86C1100 40000015
	ds_read_b32 v65, v21 offset:4416                           // 0000000048DC: D86C1140 41000015
	ds_read_b32 v68, v21 offset:6528                           // 0000000048E4: D86C1980 44000015
	ds_read_b32 v69, v21 offset:6592                           // 0000000048EC: D86C19C0 45000015
	s_waitcnt lgkmcnt(0)                                       // 0000000048F4: BF8CC07F
	s_mov_b32 s36, -1                                          // 0000000048F8: BEA400C1
	s_mov_b32 s37, -1                                          // 0000000048FC: BEA500C1
	v_mov_b32_e32 v7, 0                                        // 000000004900: 7E0E0280
	s_mov_b64 exec, s[36:37]                                   // 000000004904: BEFE0124
	v_mov_b32_e32 v6, v44                                      // 000000004908: 7E0C032C
	s_mov_b64 s[60:61], 0                                      // 00000000490C: BEBC0180
	v_readlane_b32 s82, v3, 0                                  // 000000004910: D2890052 00010103
	s_and_b32 s82, s82, 0xffffff                               // 000000004918: 8652FF52 00FFFFFF
	s_cmp_lt_u32 s82, s66                                      // 000000004920: BF0A4252
	s_cselect_b32 s20, s36, s60                                // 000000004924: 85143C24
	v_readlane_b32 s82, v3, 1                                  // 000000004928: D2890052 00010303
	s_and_b32 s82, s82, 0xffffff                               // 000000004930: 8652FF52 00FFFFFF
	s_cmp_lt_u32 s82, s66                                      // 000000004938: BF0A4252
	s_cselect_b32 s21, s36, s60                                // 00000000493C: 85153C24
	s_mov_b64 exec, s[20:21]                                   // 000000004940: BEFE0114
	global_atomic_add_f32 v6, v56, s[8:9]                      // 000000004944: DD348000 00083806
	s_mov_b64 exec, s[36:37]                                   // 00000000494C: BEFE0124
	v_mov_b32_e32 v6, v45                                      // 000000004950: 7E0C032D
	s_mov_b64 s[60:61], 0                                      // 000000004954: BEBC0180
	v_readlane_b32 s82, v3, 2                                  // 000000004958: D2890052 00010503
	s_and_b32 s82, s82, 0xffffff                               // 000000004960: 8652FF52 00FFFFFF
	s_cmp_lt_u32 s82, s66                                      // 000000004968: BF0A4252
	s_cselect_b32 s20, s36, s60                                // 00000000496C: 85143C24
	v_readlane_b32 s82, v3, 3                                  // 000000004970: D2890052 00010703
	s_and_b32 s82, s82, 0xffffff                               // 000000004978: 8652FF52 00FFFFFF
	s_cmp_lt_u32 s82, s66                                      // 000000004980: BF0A4252
	s_cselect_b32 s21, s36, s60                                // 000000004984: 85153C24
	s_mov_b64 exec, s[20:21]                                   // 000000004988: BEFE0114
	global_atomic_add_f32 v6, v57, s[8:9]                      // 00000000498C: DD348000 00083906
	s_mov_b64 exec, s[36:37]                                   // 000000004994: BEFE0124
	v_mov_b32_e32 v6, v46                                      // 000000004998: 7E0C032E
	s_mov_b64 s[60:61], 0                                      // 00000000499C: BEBC0180
	v_readlane_b32 s82, v3, 4                                  // 0000000049A0: D2890052 00010903
	s_and_b32 s82, s82, 0xffffff                               // 0000000049A8: 8652FF52 00FFFFFF
	s_cmp_lt_u32 s82, s66                                      // 0000000049B0: BF0A4252
	s_cselect_b32 s20, s36, s60                                // 0000000049B4: 85143C24
	v_readlane_b32 s82, v3, 5                                  // 0000000049B8: D2890052 00010B03
	s_and_b32 s82, s82, 0xffffff                               // 0000000049C0: 8652FF52 00FFFFFF
	s_cmp_lt_u32 s82, s66                                      // 0000000049C8: BF0A4252
	s_cselect_b32 s21, s36, s60                                // 0000000049CC: 85153C24
	s_mov_b64 exec, s[20:21]                                   // 0000000049D0: BEFE0114
	global_atomic_add_f32 v6, v60, s[8:9]                      // 0000000049D4: DD348000 00083C06
	s_mov_b64 exec, s[36:37]                                   // 0000000049DC: BEFE0124
	v_mov_b32_e32 v6, v47                                      // 0000000049E0: 7E0C032F
	s_mov_b64 s[60:61], 0                                      // 0000000049E4: BEBC0180
	v_readlane_b32 s82, v3, 6                                  // 0000000049E8: D2890052 00010D03
	s_and_b32 s82, s82, 0xffffff                               // 0000000049F0: 8652FF52 00FFFFFF
	s_cmp_lt_u32 s82, s66                                      // 0000000049F8: BF0A4252
	s_cselect_b32 s20, s36, s60                                // 0000000049FC: 85143C24
	v_readlane_b32 s82, v3, 7                                  // 000000004A00: D2890052 00010F03
	s_and_b32 s82, s82, 0xffffff                               // 000000004A08: 8652FF52 00FFFFFF
	s_cmp_lt_u32 s82, s66                                      // 000000004A10: BF0A4252
	s_cselect_b32 s21, s36, s60                                // 000000004A14: 85153C24
	s_mov_b64 exec, s[20:21]                                   // 000000004A18: BEFE0114
	global_atomic_add_f32 v6, v61, s[8:9]                      // 000000004A1C: DD348000 00083D06
	s_mov_b64 exec, s[36:37]                                   // 000000004A24: BEFE0124
	v_mov_b32_e32 v6, v48                                      // 000000004A28: 7E0C0330
	s_mov_b64 s[60:61], 0                                      // 000000004A2C: BEBC0180
	v_readlane_b32 s82, v3, 8                                  // 000000004A30: D2890052 00011103
	s_and_b32 s82, s82, 0xffffff                               // 000000004A38: 8652FF52 00FFFFFF
	s_cmp_lt_u32 s82, s66                                      // 000000004A40: BF0A4252
	s_cselect_b32 s20, s36, s60                                // 000000004A44: 85143C24
	v_readlane_b32 s82, v3, 9                                  // 000000004A48: D2890052 00011303
	s_and_b32 s82, s82, 0xffffff                               // 000000004A50: 8652FF52 00FFFFFF
	s_cmp_lt_u32 s82, s66                                      // 000000004A58: BF0A4252
	s_cselect_b32 s21, s36, s60                                // 000000004A5C: 85153C24
	s_mov_b64 exec, s[20:21]                                   // 000000004A60: BEFE0114
	global_atomic_add_f32 v6, v64, s[8:9]                      // 000000004A64: DD348000 00084006
	s_mov_b64 exec, s[36:37]                                   // 000000004A6C: BEFE0124
	v_mov_b32_e32 v6, v49                                      // 000000004A70: 7E0C0331
	s_mov_b64 s[60:61], 0                                      // 000000004A74: BEBC0180
	v_readlane_b32 s82, v3, 10                                 // 000000004A78: D2890052 00011503
	s_and_b32 s82, s82, 0xffffff                               // 000000004A80: 8652FF52 00FFFFFF
	s_cmp_lt_u32 s82, s66                                      // 000000004A88: BF0A4252
	s_cselect_b32 s20, s36, s60                                // 000000004A8C: 85143C24
	v_readlane_b32 s82, v3, 11                                 // 000000004A90: D2890052 00011703
	s_and_b32 s82, s82, 0xffffff                               // 000000004A98: 8652FF52 00FFFFFF
	s_cmp_lt_u32 s82, s66                                      // 000000004AA0: BF0A4252
	s_cselect_b32 s21, s36, s60                                // 000000004AA4: 85153C24
	s_mov_b64 exec, s[20:21]                                   // 000000004AA8: BEFE0114
	global_atomic_add_f32 v6, v65, s[8:9]                      // 000000004AAC: DD348000 00084106
	s_mov_b64 exec, s[36:37]                                   // 000000004AB4: BEFE0124
	v_mov_b32_e32 v6, v50                                      // 000000004AB8: 7E0C0332
	s_mov_b64 s[60:61], 0                                      // 000000004ABC: BEBC0180
	v_readlane_b32 s82, v3, 12                                 // 000000004AC0: D2890052 00011903
	s_and_b32 s82, s82, 0xffffff                               // 000000004AC8: 8652FF52 00FFFFFF
	s_cmp_lt_u32 s82, s66                                      // 000000004AD0: BF0A4252
	s_cselect_b32 s20, s36, s60                                // 000000004AD4: 85143C24
	v_readlane_b32 s82, v3, 13                                 // 000000004AD8: D2890052 00011B03
	s_and_b32 s82, s82, 0xffffff                               // 000000004AE0: 8652FF52 00FFFFFF
	s_cmp_lt_u32 s82, s66                                      // 000000004AE8: BF0A4252
	s_cselect_b32 s21, s36, s60                                // 000000004AEC: 85153C24
	s_mov_b64 exec, s[20:21]                                   // 000000004AF0: BEFE0114
	global_atomic_add_f32 v6, v68, s[8:9]                      // 000000004AF4: DD348000 00084406
	s_mov_b64 exec, s[36:37]                                   // 000000004AFC: BEFE0124
	v_mov_b32_e32 v6, v51                                      // 000000004B00: 7E0C0333
	s_mov_b64 s[60:61], 0                                      // 000000004B04: BEBC0180
	v_readlane_b32 s82, v3, 14                                 // 000000004B08: D2890052 00011D03
	s_and_b32 s82, s82, 0xffffff                               // 000000004B10: 8652FF52 00FFFFFF
	s_cmp_lt_u32 s82, s66                                      // 000000004B18: BF0A4252
	s_cselect_b32 s20, s36, s60                                // 000000004B1C: 85143C24
	v_readlane_b32 s82, v3, 15                                 // 000000004B20: D2890052 00011F03
	s_and_b32 s82, s82, 0xffffff                               // 000000004B28: 8652FF52 00FFFFFF
	s_cmp_lt_u32 s82, s66                                      // 000000004B30: BF0A4252
	s_cselect_b32 s21, s36, s60                                // 000000004B34: 85153C24
	s_mov_b64 exec, s[20:21]                                   // 000000004B38: BEFE0114
	global_atomic_add_f32 v6, v69, s[8:9]                      // 000000004B3C: DD348000 00084506
	s_mov_b64 exec, s[36:37]                                   // 000000004B44: BEFE0124
	ds_write_b64 v20, v[58:59]                                 // 000000004B48: D89A0000 00003A14
	ds_write_b64 v20, v[62:63] offset:2176                     // 000000004B50: D89A0880 00003E14
	ds_write_b64 v20, v[66:67] offset:4352                     // 000000004B58: D89A1100 00004214
	ds_write_b64 v20, v[70:71] offset:6528                     // 000000004B60: D89A1980 00004614
	s_waitcnt lgkmcnt(0)                                       // 000000004B68: BF8CC07F
	s_barrier                                                  // 000000004B6C: BF8A0000
	ds_read_b32 v58, v21                                       // 000000004B70: D86C0000 3A000015
	ds_read_b32 v59, v21 offset:64                             // 000000004B78: D86C0040 3B000015
	ds_read_b32 v62, v21 offset:2176                           // 000000004B80: D86C0880 3E000015
	ds_read_b32 v63, v21 offset:2240                           // 000000004B88: D86C08C0 3F000015
	ds_read_b32 v66, v21 offset:4352                           // 000000004B90: D86C1100 42000015
	ds_read_b32 v67, v21 offset:4416                           // 000000004B98: D86C1140 43000015
	ds_read_b32 v70, v21 offset:6528                           // 000000004BA0: D86C1980 46000015
	ds_read_b32 v71, v21 offset:6592                           // 000000004BA8: D86C19C0 47000015
	s_waitcnt lgkmcnt(0)                                       // 000000004BB0: BF8CC07F
	v_mov_b32_e32 v7, 0                                        // 000000004BB4: 7E0E0280
	s_mov_b64 exec, s[36:37]                                   // 000000004BB8: BEFE0124
	v_mov_b32_e32 v6, v44                                      // 000000004BBC: 7E0C032C
	s_mov_b64 s[60:61], 0                                      // 000000004BC0: BEBC0180
	v_readlane_b32 s82, v3, 0                                  // 000000004BC4: D2890052 00010103
	s_and_b32 s82, s82, 0xffffff                               // 000000004BCC: 8652FF52 00FFFFFF
	s_cmp_lt_u32 s82, s66                                      // 000000004BD4: BF0A4252
	s_cselect_b32 s20, s36, s60                                // 000000004BD8: 85143C24
	v_readlane_b32 s82, v3, 1                                  // 000000004BDC: D2890052 00010303
	s_and_b32 s82, s82, 0xffffff                               // 000000004BE4: 8652FF52 00FFFFFF
	s_cmp_lt_u32 s82, s66                                      // 000000004BEC: BF0A4252
	s_cselect_b32 s21, s36, s60                                // 000000004BF0: 85153C24
	s_mov_b64 exec, s[20:21]                                   // 000000004BF4: BEFE0114
	global_atomic_add_f32 v6, v58, s[8:9] offset:8             // 000000004BF8: DD348008 00083A06
	s_mov_b64 exec, s[36:37]                                   // 000000004C00: BEFE0124
	v_mov_b32_e32 v6, v45                                      // 000000004C04: 7E0C032D
	s_mov_b64 s[60:61], 0                                      // 000000004C08: BEBC0180
	v_readlane_b32 s82, v3, 2                                  // 000000004C0C: D2890052 00010503
	s_and_b32 s82, s82, 0xffffff                               // 000000004C14: 8652FF52 00FFFFFF
	s_cmp_lt_u32 s82, s66                                      // 000000004C1C: BF0A4252
	s_cselect_b32 s20, s36, s60                                // 000000004C20: 85143C24
	v_readlane_b32 s82, v3, 3                                  // 000000004C24: D2890052 00010703
	s_and_b32 s82, s82, 0xffffff                               // 000000004C2C: 8652FF52 00FFFFFF
	s_cmp_lt_u32 s82, s66                                      // 000000004C34: BF0A4252
	s_cselect_b32 s21, s36, s60                                // 000000004C38: 85153C24
	s_mov_b64 exec, s[20:21]                                   // 000000004C3C: BEFE0114
	global_atomic_add_f32 v6, v59, s[8:9] offset:8             // 000000004C40: DD348008 00083B06
	s_mov_b64 exec, s[36:37]                                   // 000000004C48: BEFE0124
	v_mov_b32_e32 v6, v46                                      // 000000004C4C: 7E0C032E
	s_mov_b64 s[60:61], 0                                      // 000000004C50: BEBC0180
	v_readlane_b32 s82, v3, 4                                  // 000000004C54: D2890052 00010903
	s_and_b32 s82, s82, 0xffffff                               // 000000004C5C: 8652FF52 00FFFFFF
	s_cmp_lt_u32 s82, s66                                      // 000000004C64: BF0A4252
	s_cselect_b32 s20, s36, s60                                // 000000004C68: 85143C24
	v_readlane_b32 s82, v3, 5                                  // 000000004C6C: D2890052 00010B03
	s_and_b32 s82, s82, 0xffffff                               // 000000004C74: 8652FF52 00FFFFFF
	s_cmp_lt_u32 s82, s66                                      // 000000004C7C: BF0A4252
	s_cselect_b32 s21, s36, s60                                // 000000004C80: 85153C24
	s_mov_b64 exec, s[20:21]                                   // 000000004C84: BEFE0114
	global_atomic_add_f32 v6, v62, s[8:9] offset:8             // 000000004C88: DD348008 00083E06
	s_mov_b64 exec, s[36:37]                                   // 000000004C90: BEFE0124
	v_mov_b32_e32 v6, v47                                      // 000000004C94: 7E0C032F
	s_mov_b64 s[60:61], 0                                      // 000000004C98: BEBC0180
	v_readlane_b32 s82, v3, 6                                  // 000000004C9C: D2890052 00010D03
	s_and_b32 s82, s82, 0xffffff                               // 000000004CA4: 8652FF52 00FFFFFF
	s_cmp_lt_u32 s82, s66                                      // 000000004CAC: BF0A4252
	s_cselect_b32 s20, s36, s60                                // 000000004CB0: 85143C24
	v_readlane_b32 s82, v3, 7                                  // 000000004CB4: D2890052 00010F03
	s_and_b32 s82, s82, 0xffffff                               // 000000004CBC: 8652FF52 00FFFFFF
	s_cmp_lt_u32 s82, s66                                      // 000000004CC4: BF0A4252
	s_cselect_b32 s21, s36, s60                                // 000000004CC8: 85153C24
	s_mov_b64 exec, s[20:21]                                   // 000000004CCC: BEFE0114
	global_atomic_add_f32 v6, v63, s[8:9] offset:8             // 000000004CD0: DD348008 00083F06
	s_mov_b64 exec, s[36:37]                                   // 000000004CD8: BEFE0124
	v_mov_b32_e32 v6, v48                                      // 000000004CDC: 7E0C0330
	s_mov_b64 s[60:61], 0                                      // 000000004CE0: BEBC0180
	v_readlane_b32 s82, v3, 8                                  // 000000004CE4: D2890052 00011103
	s_and_b32 s82, s82, 0xffffff                               // 000000004CEC: 8652FF52 00FFFFFF
	s_cmp_lt_u32 s82, s66                                      // 000000004CF4: BF0A4252
	s_cselect_b32 s20, s36, s60                                // 000000004CF8: 85143C24
	v_readlane_b32 s82, v3, 9                                  // 000000004CFC: D2890052 00011303
	s_and_b32 s82, s82, 0xffffff                               // 000000004D04: 8652FF52 00FFFFFF
	s_cmp_lt_u32 s82, s66                                      // 000000004D0C: BF0A4252
	s_cselect_b32 s21, s36, s60                                // 000000004D10: 85153C24
	s_mov_b64 exec, s[20:21]                                   // 000000004D14: BEFE0114
	global_atomic_add_f32 v6, v66, s[8:9] offset:8             // 000000004D18: DD348008 00084206
	s_mov_b64 exec, s[36:37]                                   // 000000004D20: BEFE0124
	v_mov_b32_e32 v6, v49                                      // 000000004D24: 7E0C0331
	s_mov_b64 s[60:61], 0                                      // 000000004D28: BEBC0180
	v_readlane_b32 s82, v3, 10                                 // 000000004D2C: D2890052 00011503
	s_and_b32 s82, s82, 0xffffff                               // 000000004D34: 8652FF52 00FFFFFF
	s_cmp_lt_u32 s82, s66                                      // 000000004D3C: BF0A4252
	s_cselect_b32 s20, s36, s60                                // 000000004D40: 85143C24
	v_readlane_b32 s82, v3, 11                                 // 000000004D44: D2890052 00011703
	s_and_b32 s82, s82, 0xffffff                               // 000000004D4C: 8652FF52 00FFFFFF
	s_cmp_lt_u32 s82, s66                                      // 000000004D54: BF0A4252
	s_cselect_b32 s21, s36, s60                                // 000000004D58: 85153C24
	s_mov_b64 exec, s[20:21]                                   // 000000004D5C: BEFE0114
	global_atomic_add_f32 v6, v67, s[8:9] offset:8             // 000000004D60: DD348008 00084306
	s_mov_b64 exec, s[36:37]                                   // 000000004D68: BEFE0124
	v_mov_b32_e32 v6, v50                                      // 000000004D6C: 7E0C0332
	s_mov_b64 s[60:61], 0                                      // 000000004D70: BEBC0180
	v_readlane_b32 s82, v3, 12                                 // 000000004D74: D2890052 00011903
	s_and_b32 s82, s82, 0xffffff                               // 000000004D7C: 8652FF52 00FFFFFF
	s_cmp_lt_u32 s82, s66                                      // 000000004D84: BF0A4252
	s_cselect_b32 s20, s36, s60                                // 000000004D88: 85143C24
	v_readlane_b32 s82, v3, 13                                 // 000000004D8C: D2890052 00011B03
	s_and_b32 s82, s82, 0xffffff                               // 000000004D94: 8652FF52 00FFFFFF
	s_cmp_lt_u32 s82, s66                                      // 000000004D9C: BF0A4252
	s_cselect_b32 s21, s36, s60                                // 000000004DA0: 85153C24
	s_mov_b64 exec, s[20:21]                                   // 000000004DA4: BEFE0114
	global_atomic_add_f32 v6, v70, s[8:9] offset:8             // 000000004DA8: DD348008 00084606
	s_mov_b64 exec, s[36:37]                                   // 000000004DB0: BEFE0124
	v_mov_b32_e32 v6, v51                                      // 000000004DB4: 7E0C0333
	s_mov_b64 s[60:61], 0                                      // 000000004DB8: BEBC0180
	v_readlane_b32 s82, v3, 14                                 // 000000004DBC: D2890052 00011D03
	s_and_b32 s82, s82, 0xffffff                               // 000000004DC4: 8652FF52 00FFFFFF
	s_cmp_lt_u32 s82, s66                                      // 000000004DCC: BF0A4252
	s_cselect_b32 s20, s36, s60                                // 000000004DD0: 85143C24
	v_readlane_b32 s82, v3, 15                                 // 000000004DD4: D2890052 00011F03
	s_and_b32 s82, s82, 0xffffff                               // 000000004DDC: 8652FF52 00FFFFFF
	s_cmp_lt_u32 s82, s66                                      // 000000004DE4: BF0A4252
	s_cselect_b32 s21, s36, s60                                // 000000004DE8: 85153C24
	s_mov_b64 exec, s[20:21]                                   // 000000004DEC: BEFE0114
	global_atomic_add_f32 v6, v71, s[8:9] offset:8             // 000000004DF0: DD348008 00084706
	s_mov_b64 exec, s[36:37]                                   // 000000004DF8: BEFE0124
	ds_write_b64 v20, v[72:73]                                 // 000000004DFC: D89A0000 00004814
	ds_write_b64 v20, v[76:77] offset:2176                     // 000000004E04: D89A0880 00004C14
	ds_write_b64 v20, v[80:81] offset:4352                     // 000000004E0C: D89A1100 00005014
	ds_write_b64 v20, v[84:85] offset:6528                     // 000000004E14: D89A1980 00005414
	s_waitcnt lgkmcnt(0)                                       // 000000004E1C: BF8CC07F
	s_barrier                                                  // 000000004E20: BF8A0000
	ds_read_b32 v72, v21                                       // 000000004E24: D86C0000 48000015
	ds_read_b32 v73, v21 offset:64                             // 000000004E2C: D86C0040 49000015
	ds_read_b32 v76, v21 offset:2176                           // 000000004E34: D86C0880 4C000015
	ds_read_b32 v77, v21 offset:2240                           // 000000004E3C: D86C08C0 4D000015
	ds_read_b32 v80, v21 offset:4352                           // 000000004E44: D86C1100 50000015
	ds_read_b32 v81, v21 offset:4416                           // 000000004E4C: D86C1140 51000015
	ds_read_b32 v84, v21 offset:6528                           // 000000004E54: D86C1980 54000015
	ds_read_b32 v85, v21 offset:6592                           // 000000004E5C: D86C19C0 55000015
	s_mul_i32 s60, s65, 4                                      // 000000004E64: 923C8441
	s_add_u32 s8, s60, s8                                      // 000000004E68: 8008083C
	s_addc_u32 s9, 0, s9                                       // 000000004E6C: 82090980
	s_waitcnt lgkmcnt(0)                                       // 000000004E70: BF8CC07F
	v_mov_b32_e32 v7, 0                                        // 000000004E74: 7E0E0280
	s_mov_b64 exec, s[36:37]                                   // 000000004E78: BEFE0124
	v_mov_b32_e32 v6, v44                                      // 000000004E7C: 7E0C032C
	s_mov_b64 s[60:61], 0                                      // 000000004E80: BEBC0180
	v_readlane_b32 s82, v3, 0                                  // 000000004E84: D2890052 00010103
	s_and_b32 s82, s82, 0xffffff                               // 000000004E8C: 8652FF52 00FFFFFF
	s_cmp_lt_u32 s82, s66                                      // 000000004E94: BF0A4252
	s_cselect_b32 s20, s36, s60                                // 000000004E98: 85143C24
	v_readlane_b32 s82, v3, 1                                  // 000000004E9C: D2890052 00010303
	s_and_b32 s82, s82, 0xffffff                               // 000000004EA4: 8652FF52 00FFFFFF
	s_cmp_lt_u32 s82, s66                                      // 000000004EAC: BF0A4252
	s_cselect_b32 s21, s36, s60                                // 000000004EB0: 85153C24
	s_mov_b64 exec, s[20:21]                                   // 000000004EB4: BEFE0114
	global_atomic_add_f32 v6, v72, s[8:9]                      // 000000004EB8: DD348000 00084806
	s_mov_b64 exec, s[36:37]                                   // 000000004EC0: BEFE0124
	v_mov_b32_e32 v6, v45                                      // 000000004EC4: 7E0C032D
	s_mov_b64 s[60:61], 0                                      // 000000004EC8: BEBC0180
	v_readlane_b32 s82, v3, 2                                  // 000000004ECC: D2890052 00010503
	s_and_b32 s82, s82, 0xffffff                               // 000000004ED4: 8652FF52 00FFFFFF
	s_cmp_lt_u32 s82, s66                                      // 000000004EDC: BF0A4252
	s_cselect_b32 s20, s36, s60                                // 000000004EE0: 85143C24
	v_readlane_b32 s82, v3, 3                                  // 000000004EE4: D2890052 00010703
	s_and_b32 s82, s82, 0xffffff                               // 000000004EEC: 8652FF52 00FFFFFF
	s_cmp_lt_u32 s82, s66                                      // 000000004EF4: BF0A4252
	s_cselect_b32 s21, s36, s60                                // 000000004EF8: 85153C24
	s_mov_b64 exec, s[20:21]                                   // 000000004EFC: BEFE0114
	global_atomic_add_f32 v6, v73, s[8:9]                      // 000000004F00: DD348000 00084906
	s_mov_b64 exec, s[36:37]                                   // 000000004F08: BEFE0124
	v_mov_b32_e32 v6, v46                                      // 000000004F0C: 7E0C032E
	s_mov_b64 s[60:61], 0                                      // 000000004F10: BEBC0180
	v_readlane_b32 s82, v3, 4                                  // 000000004F14: D2890052 00010903
	s_and_b32 s82, s82, 0xffffff                               // 000000004F1C: 8652FF52 00FFFFFF
	s_cmp_lt_u32 s82, s66                                      // 000000004F24: BF0A4252
	s_cselect_b32 s20, s36, s60                                // 000000004F28: 85143C24
	v_readlane_b32 s82, v3, 5                                  // 000000004F2C: D2890052 00010B03
	s_and_b32 s82, s82, 0xffffff                               // 000000004F34: 8652FF52 00FFFFFF
	s_cmp_lt_u32 s82, s66                                      // 000000004F3C: BF0A4252
	s_cselect_b32 s21, s36, s60                                // 000000004F40: 85153C24
	s_mov_b64 exec, s[20:21]                                   // 000000004F44: BEFE0114
	global_atomic_add_f32 v6, v76, s[8:9]                      // 000000004F48: DD348000 00084C06
	s_mov_b64 exec, s[36:37]                                   // 000000004F50: BEFE0124
	v_mov_b32_e32 v6, v47                                      // 000000004F54: 7E0C032F
	s_mov_b64 s[60:61], 0                                      // 000000004F58: BEBC0180
	v_readlane_b32 s82, v3, 6                                  // 000000004F5C: D2890052 00010D03
	s_and_b32 s82, s82, 0xffffff                               // 000000004F64: 8652FF52 00FFFFFF
	s_cmp_lt_u32 s82, s66                                      // 000000004F6C: BF0A4252
	s_cselect_b32 s20, s36, s60                                // 000000004F70: 85143C24
	v_readlane_b32 s82, v3, 7                                  // 000000004F74: D2890052 00010F03
	s_and_b32 s82, s82, 0xffffff                               // 000000004F7C: 8652FF52 00FFFFFF
	s_cmp_lt_u32 s82, s66                                      // 000000004F84: BF0A4252
	s_cselect_b32 s21, s36, s60                                // 000000004F88: 85153C24
	s_mov_b64 exec, s[20:21]                                   // 000000004F8C: BEFE0114
	global_atomic_add_f32 v6, v77, s[8:9]                      // 000000004F90: DD348000 00084D06
	s_mov_b64 exec, s[36:37]                                   // 000000004F98: BEFE0124
	v_mov_b32_e32 v6, v48                                      // 000000004F9C: 7E0C0330
	s_mov_b64 s[60:61], 0                                      // 000000004FA0: BEBC0180
	v_readlane_b32 s82, v3, 8                                  // 000000004FA4: D2890052 00011103
	s_and_b32 s82, s82, 0xffffff                               // 000000004FAC: 8652FF52 00FFFFFF
	s_cmp_lt_u32 s82, s66                                      // 000000004FB4: BF0A4252
	s_cselect_b32 s20, s36, s60                                // 000000004FB8: 85143C24
	v_readlane_b32 s82, v3, 9                                  // 000000004FBC: D2890052 00011303
	s_and_b32 s82, s82, 0xffffff                               // 000000004FC4: 8652FF52 00FFFFFF
	s_cmp_lt_u32 s82, s66                                      // 000000004FCC: BF0A4252
	s_cselect_b32 s21, s36, s60                                // 000000004FD0: 85153C24
	s_mov_b64 exec, s[20:21]                                   // 000000004FD4: BEFE0114
	global_atomic_add_f32 v6, v80, s[8:9]                      // 000000004FD8: DD348000 00085006
	s_mov_b64 exec, s[36:37]                                   // 000000004FE0: BEFE0124
	v_mov_b32_e32 v6, v49                                      // 000000004FE4: 7E0C0331
	s_mov_b64 s[60:61], 0                                      // 000000004FE8: BEBC0180
	v_readlane_b32 s82, v3, 10                                 // 000000004FEC: D2890052 00011503
	s_and_b32 s82, s82, 0xffffff                               // 000000004FF4: 8652FF52 00FFFFFF
	s_cmp_lt_u32 s82, s66                                      // 000000004FFC: BF0A4252
	s_cselect_b32 s20, s36, s60                                // 000000005000: 85143C24
	v_readlane_b32 s82, v3, 11                                 // 000000005004: D2890052 00011703
	s_and_b32 s82, s82, 0xffffff                               // 00000000500C: 8652FF52 00FFFFFF
	s_cmp_lt_u32 s82, s66                                      // 000000005014: BF0A4252
	s_cselect_b32 s21, s36, s60                                // 000000005018: 85153C24
	s_mov_b64 exec, s[20:21]                                   // 00000000501C: BEFE0114
	global_atomic_add_f32 v6, v81, s[8:9]                      // 000000005020: DD348000 00085106
	s_mov_b64 exec, s[36:37]                                   // 000000005028: BEFE0124
	v_mov_b32_e32 v6, v50                                      // 00000000502C: 7E0C0332
	s_mov_b64 s[60:61], 0                                      // 000000005030: BEBC0180
	v_readlane_b32 s82, v3, 12                                 // 000000005034: D2890052 00011903
	s_and_b32 s82, s82, 0xffffff                               // 00000000503C: 8652FF52 00FFFFFF
	s_cmp_lt_u32 s82, s66                                      // 000000005044: BF0A4252
	s_cselect_b32 s20, s36, s60                                // 000000005048: 85143C24
	v_readlane_b32 s82, v3, 13                                 // 00000000504C: D2890052 00011B03
	s_and_b32 s82, s82, 0xffffff                               // 000000005054: 8652FF52 00FFFFFF
	s_cmp_lt_u32 s82, s66                                      // 00000000505C: BF0A4252
	s_cselect_b32 s21, s36, s60                                // 000000005060: 85153C24
	s_mov_b64 exec, s[20:21]                                   // 000000005064: BEFE0114
	global_atomic_add_f32 v6, v84, s[8:9]                      // 000000005068: DD348000 00085406
	s_mov_b64 exec, s[36:37]                                   // 000000005070: BEFE0124
	v_mov_b32_e32 v6, v51                                      // 000000005074: 7E0C0333
	s_mov_b64 s[60:61], 0                                      // 000000005078: BEBC0180
	v_readlane_b32 s82, v3, 14                                 // 00000000507C: D2890052 00011D03
	s_and_b32 s82, s82, 0xffffff                               // 000000005084: 8652FF52 00FFFFFF
	s_cmp_lt_u32 s82, s66                                      // 00000000508C: BF0A4252
	s_cselect_b32 s20, s36, s60                                // 000000005090: 85143C24
	v_readlane_b32 s82, v3, 15                                 // 000000005094: D2890052 00011F03
	s_and_b32 s82, s82, 0xffffff                               // 00000000509C: 8652FF52 00FFFFFF
	s_cmp_lt_u32 s82, s66                                      // 0000000050A4: BF0A4252
	s_cselect_b32 s21, s36, s60                                // 0000000050A8: 85153C24
	s_mov_b64 exec, s[20:21]                                   // 0000000050AC: BEFE0114
	global_atomic_add_f32 v6, v85, s[8:9]                      // 0000000050B0: DD348000 00085506
	s_mov_b64 exec, s[36:37]                                   // 0000000050B8: BEFE0124
	ds_write_b64 v20, v[74:75]                                 // 0000000050BC: D89A0000 00004A14
	ds_write_b64 v20, v[78:79] offset:2176                     // 0000000050C4: D89A0880 00004E14
	ds_write_b64 v20, v[82:83] offset:4352                     // 0000000050CC: D89A1100 00005214
	ds_write_b64 v20, v[86:87] offset:6528                     // 0000000050D4: D89A1980 00005614
	s_waitcnt lgkmcnt(0)                                       // 0000000050DC: BF8CC07F
	s_barrier                                                  // 0000000050E0: BF8A0000
	ds_read_b32 v74, v21                                       // 0000000050E4: D86C0000 4A000015
	ds_read_b32 v75, v21 offset:64                             // 0000000050EC: D86C0040 4B000015
	ds_read_b32 v78, v21 offset:2176                           // 0000000050F4: D86C0880 4E000015
	ds_read_b32 v79, v21 offset:2240                           // 0000000050FC: D86C08C0 4F000015
	ds_read_b32 v82, v21 offset:4352                           // 000000005104: D86C1100 52000015
	ds_read_b32 v83, v21 offset:4416                           // 00000000510C: D86C1140 53000015
	ds_read_b32 v86, v21 offset:6528                           // 000000005114: D86C1980 56000015
	ds_read_b32 v87, v21 offset:6592                           // 00000000511C: D86C19C0 57000015
	s_waitcnt lgkmcnt(0)                                       // 000000005124: BF8CC07F
	v_mov_b32_e32 v7, 0                                        // 000000005128: 7E0E0280
	s_mov_b64 exec, s[36:37]                                   // 00000000512C: BEFE0124
	v_mov_b32_e32 v6, v44                                      // 000000005130: 7E0C032C
	s_mov_b64 s[60:61], 0                                      // 000000005134: BEBC0180
	v_readlane_b32 s82, v3, 0                                  // 000000005138: D2890052 00010103
	s_and_b32 s82, s82, 0xffffff                               // 000000005140: 8652FF52 00FFFFFF
	s_cmp_lt_u32 s82, s66                                      // 000000005148: BF0A4252
	s_cselect_b32 s20, s36, s60                                // 00000000514C: 85143C24
	v_readlane_b32 s82, v3, 1                                  // 000000005150: D2890052 00010303
	s_and_b32 s82, s82, 0xffffff                               // 000000005158: 8652FF52 00FFFFFF
	s_cmp_lt_u32 s82, s66                                      // 000000005160: BF0A4252
	s_cselect_b32 s21, s36, s60                                // 000000005164: 85153C24
	s_mov_b64 exec, s[20:21]                                   // 000000005168: BEFE0114
	global_atomic_add_f32 v6, v74, s[8:9] offset:8             // 00000000516C: DD348008 00084A06
	s_mov_b64 exec, s[36:37]                                   // 000000005174: BEFE0124
	v_mov_b32_e32 v6, v45                                      // 000000005178: 7E0C032D
	s_mov_b64 s[60:61], 0                                      // 00000000517C: BEBC0180
	v_readlane_b32 s82, v3, 2                                  // 000000005180: D2890052 00010503
	s_and_b32 s82, s82, 0xffffff                               // 000000005188: 8652FF52 00FFFFFF
	s_cmp_lt_u32 s82, s66                                      // 000000005190: BF0A4252
	s_cselect_b32 s20, s36, s60                                // 000000005194: 85143C24
	v_readlane_b32 s82, v3, 3                                  // 000000005198: D2890052 00010703
	s_and_b32 s82, s82, 0xffffff                               // 0000000051A0: 8652FF52 00FFFFFF
	s_cmp_lt_u32 s82, s66                                      // 0000000051A8: BF0A4252
	s_cselect_b32 s21, s36, s60                                // 0000000051AC: 85153C24
	s_mov_b64 exec, s[20:21]                                   // 0000000051B0: BEFE0114
	global_atomic_add_f32 v6, v75, s[8:9] offset:8             // 0000000051B4: DD348008 00084B06
	s_mov_b64 exec, s[36:37]                                   // 0000000051BC: BEFE0124
	v_mov_b32_e32 v6, v46                                      // 0000000051C0: 7E0C032E
	s_mov_b64 s[60:61], 0                                      // 0000000051C4: BEBC0180
	v_readlane_b32 s82, v3, 4                                  // 0000000051C8: D2890052 00010903
	s_and_b32 s82, s82, 0xffffff                               // 0000000051D0: 8652FF52 00FFFFFF
	s_cmp_lt_u32 s82, s66                                      // 0000000051D8: BF0A4252
	s_cselect_b32 s20, s36, s60                                // 0000000051DC: 85143C24
	v_readlane_b32 s82, v3, 5                                  // 0000000051E0: D2890052 00010B03
	s_and_b32 s82, s82, 0xffffff                               // 0000000051E8: 8652FF52 00FFFFFF
	s_cmp_lt_u32 s82, s66                                      // 0000000051F0: BF0A4252
	s_cselect_b32 s21, s36, s60                                // 0000000051F4: 85153C24
	s_mov_b64 exec, s[20:21]                                   // 0000000051F8: BEFE0114
	global_atomic_add_f32 v6, v78, s[8:9] offset:8             // 0000000051FC: DD348008 00084E06
	s_mov_b64 exec, s[36:37]                                   // 000000005204: BEFE0124
	v_mov_b32_e32 v6, v47                                      // 000000005208: 7E0C032F
	s_mov_b64 s[60:61], 0                                      // 00000000520C: BEBC0180
	v_readlane_b32 s82, v3, 6                                  // 000000005210: D2890052 00010D03
	s_and_b32 s82, s82, 0xffffff                               // 000000005218: 8652FF52 00FFFFFF
	s_cmp_lt_u32 s82, s66                                      // 000000005220: BF0A4252
	s_cselect_b32 s20, s36, s60                                // 000000005224: 85143C24
	v_readlane_b32 s82, v3, 7                                  // 000000005228: D2890052 00010F03
	s_and_b32 s82, s82, 0xffffff                               // 000000005230: 8652FF52 00FFFFFF
	s_cmp_lt_u32 s82, s66                                      // 000000005238: BF0A4252
	s_cselect_b32 s21, s36, s60                                // 00000000523C: 85153C24
	s_mov_b64 exec, s[20:21]                                   // 000000005240: BEFE0114
	global_atomic_add_f32 v6, v79, s[8:9] offset:8             // 000000005244: DD348008 00084F06
	s_mov_b64 exec, s[36:37]                                   // 00000000524C: BEFE0124
	v_mov_b32_e32 v6, v48                                      // 000000005250: 7E0C0330
	s_mov_b64 s[60:61], 0                                      // 000000005254: BEBC0180
	v_readlane_b32 s82, v3, 8                                  // 000000005258: D2890052 00011103
	s_and_b32 s82, s82, 0xffffff                               // 000000005260: 8652FF52 00FFFFFF
	s_cmp_lt_u32 s82, s66                                      // 000000005268: BF0A4252
	s_cselect_b32 s20, s36, s60                                // 00000000526C: 85143C24
	v_readlane_b32 s82, v3, 9                                  // 000000005270: D2890052 00011303
	s_and_b32 s82, s82, 0xffffff                               // 000000005278: 8652FF52 00FFFFFF
	s_cmp_lt_u32 s82, s66                                      // 000000005280: BF0A4252
	s_cselect_b32 s21, s36, s60                                // 000000005284: 85153C24
	s_mov_b64 exec, s[20:21]                                   // 000000005288: BEFE0114
	global_atomic_add_f32 v6, v82, s[8:9] offset:8             // 00000000528C: DD348008 00085206
	s_mov_b64 exec, s[36:37]                                   // 000000005294: BEFE0124
	v_mov_b32_e32 v6, v49                                      // 000000005298: 7E0C0331
	s_mov_b64 s[60:61], 0                                      // 00000000529C: BEBC0180
	v_readlane_b32 s82, v3, 10                                 // 0000000052A0: D2890052 00011503
	s_and_b32 s82, s82, 0xffffff                               // 0000000052A8: 8652FF52 00FFFFFF
	s_cmp_lt_u32 s82, s66                                      // 0000000052B0: BF0A4252
	s_cselect_b32 s20, s36, s60                                // 0000000052B4: 85143C24
	v_readlane_b32 s82, v3, 11                                 // 0000000052B8: D2890052 00011703
	s_and_b32 s82, s82, 0xffffff                               // 0000000052C0: 8652FF52 00FFFFFF
	s_cmp_lt_u32 s82, s66                                      // 0000000052C8: BF0A4252
	s_cselect_b32 s21, s36, s60                                // 0000000052CC: 85153C24
	s_mov_b64 exec, s[20:21]                                   // 0000000052D0: BEFE0114
	global_atomic_add_f32 v6, v83, s[8:9] offset:8             // 0000000052D4: DD348008 00085306
	s_mov_b64 exec, s[36:37]                                   // 0000000052DC: BEFE0124
	v_mov_b32_e32 v6, v50                                      // 0000000052E0: 7E0C0332
	s_mov_b64 s[60:61], 0                                      // 0000000052E4: BEBC0180
	v_readlane_b32 s82, v3, 12                                 // 0000000052E8: D2890052 00011903
	s_and_b32 s82, s82, 0xffffff                               // 0000000052F0: 8652FF52 00FFFFFF
	s_cmp_lt_u32 s82, s66                                      // 0000000052F8: BF0A4252
	s_cselect_b32 s20, s36, s60                                // 0000000052FC: 85143C24
	v_readlane_b32 s82, v3, 13                                 // 000000005300: D2890052 00011B03
	s_and_b32 s82, s82, 0xffffff                               // 000000005308: 8652FF52 00FFFFFF
	s_cmp_lt_u32 s82, s66                                      // 000000005310: BF0A4252
	s_cselect_b32 s21, s36, s60                                // 000000005314: 85153C24
	s_mov_b64 exec, s[20:21]                                   // 000000005318: BEFE0114
	global_atomic_add_f32 v6, v86, s[8:9] offset:8             // 00000000531C: DD348008 00085606
	s_mov_b64 exec, s[36:37]                                   // 000000005324: BEFE0124
	v_mov_b32_e32 v6, v51                                      // 000000005328: 7E0C0333
	s_mov_b64 s[60:61], 0                                      // 00000000532C: BEBC0180
	v_readlane_b32 s82, v3, 14                                 // 000000005330: D2890052 00011D03
	s_and_b32 s82, s82, 0xffffff                               // 000000005338: 8652FF52 00FFFFFF
	s_cmp_lt_u32 s82, s66                                      // 000000005340: BF0A4252
	s_cselect_b32 s20, s36, s60                                // 000000005344: 85143C24
	v_readlane_b32 s82, v3, 15                                 // 000000005348: D2890052 00011F03
	s_and_b32 s82, s82, 0xffffff                               // 000000005350: 8652FF52 00FFFFFF
	s_cmp_lt_u32 s82, s66                                      // 000000005358: BF0A4252
	s_cselect_b32 s21, s36, s60                                // 00000000535C: 85153C24
	s_mov_b64 exec, s[20:21]                                   // 000000005360: BEFE0114
	global_atomic_add_f32 v6, v87, s[8:9] offset:8             // 000000005364: DD348008 00085706
	s_mov_b64 exec, s[36:37]                                   // 00000000536C: BEFE0124
	s_branch label_1270                                        // 000000005370: BF820810

0000000000005374 <label_0A60>:
	s_waitcnt vmcnt(0) lgkmcnt(0)                              // 000000005374: BF8C0070
	s_barrier                                                  // 000000005378: BF8A0000
	v_mfma_f32_16x16x32_fp8_fp8 v[56:59], a[64:65], a[0:1], v[56:59]// 00000000537C: D3F30038 1CE20140
	buffer_load_dwordx4 a[72:75], v52, s[84:87], 0 offen       // 000000005384: E05C1000 80954834
	v_mfma_f32_16x16x32_fp8_fp8 v[56:59], a[66:67], a[2:3], v[56:59]// 00000000538C: D3F30038 1CE20542
	v_mfma_f32_16x16x32_fp8_fp8 v[56:59], a[68:69], a[4:5], v[56:59]// 000000005394: D3F30038 1CE20944
	v_mfma_f32_16x16x32_fp8_fp8 v[56:59], a[70:71], a[6:7], v[56:59]// 00000000539C: D3F30038 1CE20D46
	v_mfma_f32_16x16x32_fp8_fp8 v[60:63], a[64:65], a[8:9], v[60:63]// 0000000053A4: D3F3003C 1CF21140
	buffer_load_dwordx4 a[76:79], v52, s[84:87], 0 offen offset:1024// 0000000053AC: E05C1400 80954C34
	buffer_load_dword v44, s[20:23], 0 offen lds               // 0000000053B4: E0511000 8005002C
	s_add_u32 m0, 0x100, s48                                   // 0000000053BC: 807C30FF 00000100
	v_mfma_f32_16x16x32_fp8_fp8 v[60:63], a[66:67], a[10:11], v[60:63]// 0000000053C4: D3F3003C 1CF21542
	v_mfma_f32_16x16x32_fp8_fp8 v[60:63], a[68:69], a[12:13], v[60:63]// 0000000053CC: D3F3003C 1CF21944
	buffer_load_dword v45, s[20:23], 0 offen lds               // 0000000053D4: E0511000 8005002D
	s_add_u32 m0, 0x200, s48                                   // 0000000053DC: 807C30FF 00000200
	v_mfma_f32_16x16x32_fp8_fp8 v[60:63], a[70:71], a[14:15], v[60:63]// 0000000053E4: D3F3003C 1CF21D46
	v_mfma_f32_16x16x32_fp8_fp8 v[64:67], a[64:65], a[16:17], v[64:67]// 0000000053EC: D3F30040 1D022140
	buffer_load_dword v46, s[20:23], 0 offen lds               // 0000000053F4: E0511000 8005002E
	s_add_u32 m0, 0x300, s48                                   // 0000000053FC: 807C30FF 00000300
	v_mfma_f32_16x16x32_fp8_fp8 v[64:67], a[66:67], a[18:19], v[64:67]// 000000005404: D3F30040 1D022542
	v_mfma_f32_16x16x32_fp8_fp8 v[64:67], a[68:69], a[20:21], v[64:67]// 00000000540C: D3F30040 1D022944
	buffer_load_dword v47, s[20:23], 0 offen lds               // 000000005414: E0511000 8005002F
	s_add_u32 m0, 0x400, s48                                   // 00000000541C: 807C30FF 00000400
	v_mfma_f32_16x16x32_fp8_fp8 v[64:67], a[70:71], a[22:23], v[64:67]// 000000005424: D3F30040 1D022D46
	v_mfma_f32_16x16x32_fp8_fp8 v[68:71], a[64:65], a[24:25], v[68:71]// 00000000542C: D3F30044 1D123140
	buffer_load_dword v48, s[20:23], 0 offen lds               // 000000005434: E0511000 80050030
	s_add_u32 m0, 0x500, s48                                   // 00000000543C: 807C30FF 00000500
	v_mfma_f32_16x16x32_fp8_fp8 v[68:71], a[66:67], a[26:27], v[68:71]// 000000005444: D3F30044 1D123542
	s_add_u32 s60, 0x80, s80                                   // 00000000544C: 803C50FF 00000080
	s_cmp_lt_u32 s60, s81                                      // 000000005454: BF0A513C
	s_cselect_b32 s83, s83, 0                                  // 000000005458: 85538053
	v_mfma_f32_16x16x32_fp8_fp8 v[68:71], a[68:69], a[28:29], v[68:71]// 00000000545C: D3F30044 1D123944
	buffer_load_dword v49, s[20:23], 0 offen lds               // 000000005464: E0511000 80050031
	s_add_u32 m0, 0x600, s48                                   // 00000000546C: 807C30FF 00000600
	v_mfma_f32_16x16x32_fp8_fp8 v[68:71], a[70:71], a[30:31], v[68:71]// 000000005474: D3F30044 1D123D46
	buffer_load_dword v50, s[20:23], 0 offen lds               // 00000000547C: E0511000 80050032
	s_add_u32 m0, 0x700, s48                                   // 000000005484: 807C30FF 00000700
	buffer_load_dword v51, s[20:23], 0 offen lds               // 00000000548C: E0511000 80050033
	s_add_u32 m0, 0, s49                                       // 000000005494: 807C3180
	s_waitcnt vmcnt(8)                                         // 000000005498: BF8C0F78
	v_mfma_f32_16x16x32_fp8_fp8 v[72:75], a[72:73], a[0:1], v[72:75]// 00000000549C: D3F30048 1D220148
	buffer_load_dwordx4 a[64:67], v52, s[24:27], 0 offen       // 0000000054A4: E05C1000 80864034
	v_mfma_f32_16x16x32_fp8_fp8 v[72:75], a[74:75], a[2:3], v[72:75]// 0000000054AC: D3F30048 1D22054A
	v_mfma_f32_16x16x32_fp8_fp8 v[72:75], a[76:77], a[4:5], v[72:75]// 0000000054B4: D3F30048 1D22094C
	ds_read_b128 a[32:35], v2 offset:8320                      // 0000000054BC: DBFE2080 20000002
	ds_read_b128 a[36:39], v2 offset:8384                      // 0000000054C4: DBFE20C0 24000002
	v_mfma_f32_16x16x32_fp8_fp8 v[72:75], a[78:79], a[6:7], v[72:75]// 0000000054CC: D3F30048 1D220D4E
	v_mfma_f32_16x16x32_fp8_fp8 v[76:79], a[72:73], a[8:9], v[76:79]// 0000000054D4: D3F3004C 1D321148
	buffer_load_dwordx4 a[68:71], v52, s[24:27], 0 offen offset:1024// 0000000054DC: E05C1400 80864434
	v_mfma_f32_16x16x32_fp8_fp8 v[76:79], a[74:75], a[10:11], v[76:79]// 0000000054E4: D3F3004C 1D32154A
	v_mfma_f32_16x16x32_fp8_fp8 v[76:79], a[76:77], a[12:13], v[76:79]// 0000000054EC: D3F3004C 1D32194C
	ds_read_b128 a[40:43], v2 offset:8832                      // 0000000054F4: DBFE2280 28000002
	ds_read_b128 a[44:47], v2 offset:8896                      // 0000000054FC: DBFE22C0 2C000002
	v_mfma_f32_16x16x32_fp8_fp8 v[76:79], a[78:79], a[14:15], v[76:79]// 000000005504: D3F3004C 1D321D4E
	v_mfma_f32_16x16x32_fp8_fp8 v[80:83], a[72:73], a[16:17], v[80:83]// 00000000550C: D3F30050 1D422148
	v_mfma_f32_16x16x32_fp8_fp8 v[80:83], a[74:75], a[18:19], v[80:83]// 000000005514: D3F30050 1D42254A
	v_mfma_f32_16x16x32_fp8_fp8 v[80:83], a[76:77], a[20:21], v[80:83]// 00000000551C: D3F30050 1D42294C
	ds_read_b128 a[48:51], v2 offset:9344                      // 000000005524: DBFE2480 30000002
	ds_read_b128 a[52:55], v2 offset:9408                      // 00000000552C: DBFE24C0 34000002
	s_add_u32 s60, 0x180, s80                                  // 000000005534: 803C50FF 00000180
	s_cmp_lt_u32 s60, s81                                      // 00000000553C: BF0A513C
	s_cselect_b32 s57, s57, 0                                  // 000000005540: 85398039
	v_mfma_f32_16x16x32_fp8_fp8 v[80:83], a[78:79], a[22:23], v[80:83]// 000000005544: D3F30050 1D422D4E
	s_add_u32 s60, 0x100, s80                                  // 00000000554C: 803C50FF 00000100
	s_cmp_lt_u32 s60, s81                                      // 000000005554: BF0A513C
	s_cselect_b32 s58, s58, 0                                  // 000000005558: 853A803A
	v_mfma_f32_16x16x32_fp8_fp8 v[84:87], a[72:73], a[24:25], v[84:87]// 00000000555C: D3F30054 1D523148
	s_add_u32 s24, s58, s24                                    // 000000005564: 8018183A
	s_addc_u32 s25, 0, s25                                     // 000000005568: 82191980
	v_mfma_f32_16x16x32_fp8_fp8 v[84:87], a[74:75], a[26:27], v[84:87]// 00000000556C: D3F30054 1D52354A
	s_add_u32 s20, s57, s20                                    // 000000005574: 80141439
	s_addc_u32 s21, 0, s21                                     // 000000005578: 82151580
	v_mfma_f32_16x16x32_fp8_fp8 v[84:87], a[76:77], a[28:29], v[84:87]// 00000000557C: D3F30054 1D52394C
	ds_read_b128 a[56:59], v2 offset:9856                      // 000000005584: DBFE2680 38000002
	ds_read_b128 a[60:63], v2 offset:9920                      // 00000000558C: DBFE26C0 3C000002
	s_add_u32 s84, s83, s84                                    // 000000005594: 80545453
	s_addc_u32 s85, 0, s85                                     // 000000005598: 82555580
	v_mfma_f32_16x16x32_fp8_fp8 v[84:87], a[78:79], a[30:31], v[84:87]// 00000000559C: D3F30054 1D523D4E
	s_addk_i32 s80, 0x80                                       // 0000000055A4: B7500080
	s_cmp_lt_i32 s80, s81                                      // 0000000055A8: BF045150
	s_cbranch_scc0 label_0B7F                                  // 0000000055AC: BF840090
	s_waitcnt vmcnt(0) lgkmcnt(0)                              // 0000000055B0: BF8C0070
	s_barrier                                                  // 0000000055B4: BF8A0000
	v_mfma_f32_16x16x32_fp8_fp8 v[56:59], a[64:65], a[32:33], v[56:59]// 0000000055B8: D3F30038 1CE24140
	buffer_load_dwordx4 a[72:75], v52, s[84:87], 0 offen       // 0000000055C0: E05C1000 80954834
	v_mfma_f32_16x16x32_fp8_fp8 v[56:59], a[66:67], a[34:35], v[56:59]// 0000000055C8: D3F30038 1CE24542
	v_mfma_f32_16x16x32_fp8_fp8 v[56:59], a[68:69], a[36:37], v[56:59]// 0000000055D0: D3F30038 1CE24944
	v_mfma_f32_16x16x32_fp8_fp8 v[56:59], a[70:71], a[38:39], v[56:59]// 0000000055D8: D3F30038 1CE24D46
	v_mfma_f32_16x16x32_fp8_fp8 v[60:63], a[64:65], a[40:41], v[60:63]// 0000000055E0: D3F3003C 1CF25140
	buffer_load_dwordx4 a[76:79], v52, s[84:87], 0 offen offset:1024// 0000000055E8: E05C1400 80954C34
	buffer_load_dword v44, s[20:23], 0 offen lds               // 0000000055F0: E0511000 8005002C
	s_add_u32 m0, 0x100, s49                                   // 0000000055F8: 807C31FF 00000100
	v_mfma_f32_16x16x32_fp8_fp8 v[60:63], a[66:67], a[42:43], v[60:63]// 000000005600: D3F3003C 1CF25542
	v_mfma_f32_16x16x32_fp8_fp8 v[60:63], a[68:69], a[44:45], v[60:63]// 000000005608: D3F3003C 1CF25944
	buffer_load_dword v45, s[20:23], 0 offen lds               // 000000005610: E0511000 8005002D
	s_add_u32 m0, 0x200, s49                                   // 000000005618: 807C31FF 00000200
	v_mfma_f32_16x16x32_fp8_fp8 v[60:63], a[70:71], a[46:47], v[60:63]// 000000005620: D3F3003C 1CF25D46
	v_mfma_f32_16x16x32_fp8_fp8 v[64:67], a[64:65], a[48:49], v[64:67]// 000000005628: D3F30040 1D026140
	buffer_load_dword v46, s[20:23], 0 offen lds               // 000000005630: E0511000 8005002E
	s_add_u32 m0, 0x300, s49                                   // 000000005638: 807C31FF 00000300
	v_mfma_f32_16x16x32_fp8_fp8 v[64:67], a[66:67], a[50:51], v[64:67]// 000000005640: D3F30040 1D026542
	v_mfma_f32_16x16x32_fp8_fp8 v[64:67], a[68:69], a[52:53], v[64:67]// 000000005648: D3F30040 1D026944
	buffer_load_dword v47, s[20:23], 0 offen lds               // 000000005650: E0511000 8005002F
	s_add_u32 m0, 0x400, s49                                   // 000000005658: 807C31FF 00000400
	v_mfma_f32_16x16x32_fp8_fp8 v[64:67], a[70:71], a[54:55], v[64:67]// 000000005660: D3F30040 1D026D46
	v_mfma_f32_16x16x32_fp8_fp8 v[68:71], a[64:65], a[56:57], v[68:71]// 000000005668: D3F30044 1D127140
	buffer_load_dword v48, s[20:23], 0 offen lds               // 000000005670: E0511000 80050030
	s_add_u32 m0, 0x500, s49                                   // 000000005678: 807C31FF 00000500
	v_mfma_f32_16x16x32_fp8_fp8 v[68:71], a[66:67], a[58:59], v[68:71]// 000000005680: D3F30044 1D127542
	s_add_u32 s60, 0x80, s80                                   // 000000005688: 803C50FF 00000080
	s_cmp_lt_u32 s60, s81                                      // 000000005690: BF0A513C
	s_cselect_b32 s83, s83, 0                                  // 000000005694: 85538053
	v_mfma_f32_16x16x32_fp8_fp8 v[68:71], a[68:69], a[60:61], v[68:71]// 000000005698: D3F30044 1D127944
	buffer_load_dword v49, s[20:23], 0 offen lds               // 0000000056A0: E0511000 80050031
	s_add_u32 m0, 0x600, s49                                   // 0000000056A8: 807C31FF 00000600
	v_mfma_f32_16x16x32_fp8_fp8 v[68:71], a[70:71], a[62:63], v[68:71]// 0000000056B0: D3F30044 1D127D46
	buffer_load_dword v50, s[20:23], 0 offen lds               // 0000000056B8: E0511000 80050032
	s_add_u32 m0, 0x700, s49                                   // 0000000056C0: 807C31FF 00000700
	buffer_load_dword v51, s[20:23], 0 offen lds               // 0000000056C8: E0511000 80050033
	s_add_u32 m0, 0, s48                                       // 0000000056D0: 807C3080
	s_waitcnt vmcnt(8)                                         // 0000000056D4: BF8C0F78
	v_mfma_f32_16x16x32_fp8_fp8 v[72:75], a[72:73], a[32:33], v[72:75]// 0000000056D8: D3F30048 1D224148
	buffer_load_dwordx4 a[64:67], v52, s[24:27], 0 offen       // 0000000056E0: E05C1000 80864034
	v_mfma_f32_16x16x32_fp8_fp8 v[72:75], a[74:75], a[34:35], v[72:75]// 0000000056E8: D3F30048 1D22454A
	v_mfma_f32_16x16x32_fp8_fp8 v[72:75], a[76:77], a[36:37], v[72:75]// 0000000056F0: D3F30048 1D22494C
	ds_read_b128 a[0:3], v2                                    // 0000000056F8: DBFE0000 00000002
	ds_read_b128 a[4:7], v2 offset:64                          // 000000005700: DBFE0040 04000002
	v_mfma_f32_16x16x32_fp8_fp8 v[72:75], a[78:79], a[38:39], v[72:75]// 000000005708: D3F30048 1D224D4E
	v_mfma_f32_16x16x32_fp8_fp8 v[76:79], a[72:73], a[40:41], v[76:79]// 000000005710: D3F3004C 1D325148
	buffer_load_dwordx4 a[68:71], v52, s[24:27], 0 offen offset:1024// 000000005718: E05C1400 80864434
	v_mfma_f32_16x16x32_fp8_fp8 v[76:79], a[74:75], a[42:43], v[76:79]// 000000005720: D3F3004C 1D32554A
	v_mfma_f32_16x16x32_fp8_fp8 v[76:79], a[76:77], a[44:45], v[76:79]// 000000005728: D3F3004C 1D32594C
	ds_read_b128 a[8:11], v2 offset:512                        // 000000005730: DBFE0200 08000002
	ds_read_b128 a[12:15], v2 offset:576                       // 000000005738: DBFE0240 0C000002
	v_mfma_f32_16x16x32_fp8_fp8 v[76:79], a[78:79], a[46:47], v[76:79]// 000000005740: D3F3004C 1D325D4E
	v_mfma_f32_16x16x32_fp8_fp8 v[80:83], a[72:73], a[48:49], v[80:83]// 000000005748: D3F30050 1D426148
	v_mfma_f32_16x16x32_fp8_fp8 v[80:83], a[74:75], a[50:51], v[80:83]// 000000005750: D3F30050 1D42654A
	v_mfma_f32_16x16x32_fp8_fp8 v[80:83], a[76:77], a[52:53], v[80:83]// 000000005758: D3F30050 1D42694C
	ds_read_b128 a[16:19], v2 offset:1024                      // 000000005760: DBFE0400 10000002
	ds_read_b128 a[20:23], v2 offset:1088                      // 000000005768: DBFE0440 14000002
	s_add_u32 s60, 0x180, s80                                  // 000000005770: 803C50FF 00000180
	s_cmp_lt_u32 s60, s81                                      // 000000005778: BF0A513C
	s_cselect_b32 s57, s57, 0                                  // 00000000577C: 85398039
	v_mfma_f32_16x16x32_fp8_fp8 v[80:83], a[78:79], a[54:55], v[80:83]// 000000005780: D3F30050 1D426D4E
	s_add_u32 s60, 0x100, s80                                  // 000000005788: 803C50FF 00000100
	s_cmp_lt_u32 s60, s81                                      // 000000005790: BF0A513C
	s_cselect_b32 s58, s58, 0                                  // 000000005794: 853A803A
	v_mfma_f32_16x16x32_fp8_fp8 v[84:87], a[72:73], a[56:57], v[84:87]// 000000005798: D3F30054 1D527148
	s_add_u32 s24, s58, s24                                    // 0000000057A0: 8018183A
	s_addc_u32 s25, 0, s25                                     // 0000000057A4: 82191980
	v_mfma_f32_16x16x32_fp8_fp8 v[84:87], a[74:75], a[58:59], v[84:87]// 0000000057A8: D3F30054 1D52754A
	s_add_u32 s20, s57, s20                                    // 0000000057B0: 80141439
	s_addc_u32 s21, 0, s21                                     // 0000000057B4: 82151580
	v_mfma_f32_16x16x32_fp8_fp8 v[84:87], a[76:77], a[60:61], v[84:87]// 0000000057B8: D3F30054 1D52794C
	ds_read_b128 a[24:27], v2 offset:1536                      // 0000000057C0: DBFE0600 18000002
	ds_read_b128 a[28:31], v2 offset:1600                      // 0000000057C8: DBFE0640 1C000002
	s_add_u32 s84, s83, s84                                    // 0000000057D0: 80545453
	s_addc_u32 s85, 0, s85                                     // 0000000057D4: 82555580
	v_mfma_f32_16x16x32_fp8_fp8 v[84:87], a[78:79], a[62:63], v[84:87]// 0000000057D8: D3F30054 1D527D4E
	s_addk_i32 s80, 0x80                                       // 0000000057E0: B7500080
	s_cmp_lt_i32 s80, s81                                      // 0000000057E4: BF045150
	s_cbranch_scc0 label_0B7F                                  // 0000000057E8: BF840001
	s_branch label_0A60                                        // 0000000057EC: BF82FEE1

00000000000057f0 <label_0B7F>:
	v_mul_f32_dpp v56, v24, v56 row_newbcast:0 row_mask:0xf bank_mask:0xf// 0000000057F0: 0A7070FA FF015018
	v_mul_f32_dpp v57, v24, v57 row_newbcast:1 row_mask:0xf bank_mask:0xf// 0000000057F8: 0A7272FA FF015118
	v_mul_f32_dpp v58, v24, v58 row_newbcast:2 row_mask:0xf bank_mask:0xf// 000000005800: 0A7474FA FF015218
	v_mul_f32_dpp v59, v24, v59 row_newbcast:3 row_mask:0xf bank_mask:0xf// 000000005808: 0A7676FA FF015318
	v_mul_f32_dpp v60, v24, v60 row_newbcast:0 row_mask:0xf bank_mask:0xf// 000000005810: 0A7878FA FF015018
	v_mul_f32_dpp v61, v24, v61 row_newbcast:1 row_mask:0xf bank_mask:0xf// 000000005818: 0A7A7AFA FF015118
	v_mul_f32_dpp v62, v24, v62 row_newbcast:2 row_mask:0xf bank_mask:0xf// 000000005820: 0A7C7CFA FF015218
	v_mul_f32_dpp v63, v24, v63 row_newbcast:3 row_mask:0xf bank_mask:0xf// 000000005828: 0A7E7EFA FF015318
	v_mul_f32_dpp v64, v24, v64 row_newbcast:0 row_mask:0xf bank_mask:0xf// 000000005830: 0A8080FA FF015018
	v_mul_f32_dpp v65, v24, v65 row_newbcast:1 row_mask:0xf bank_mask:0xf// 000000005838: 0A8282FA FF015118
	v_mul_f32_dpp v66, v24, v66 row_newbcast:2 row_mask:0xf bank_mask:0xf// 000000005840: 0A8484FA FF015218
	v_mul_f32_dpp v67, v24, v67 row_newbcast:3 row_mask:0xf bank_mask:0xf// 000000005848: 0A8686FA FF015318
	v_mul_f32_dpp v68, v24, v68 row_newbcast:0 row_mask:0xf bank_mask:0xf// 000000005850: 0A8888FA FF015018
	v_mul_f32_dpp v69, v24, v69 row_newbcast:1 row_mask:0xf bank_mask:0xf// 000000005858: 0A8A8AFA FF015118
	v_mul_f32_dpp v70, v24, v70 row_newbcast:2 row_mask:0xf bank_mask:0xf// 000000005860: 0A8C8CFA FF015218
	v_mul_f32_dpp v71, v24, v71 row_newbcast:3 row_mask:0xf bank_mask:0xf// 000000005868: 0A8E8EFA FF015318
	v_mul_f32_dpp v72, v26, v72 row_newbcast:0 row_mask:0xf bank_mask:0xf// 000000005870: 0A9090FA FF01501A
	v_mul_f32_dpp v73, v26, v73 row_newbcast:1 row_mask:0xf bank_mask:0xf// 000000005878: 0A9292FA FF01511A
	v_mul_f32_dpp v74, v26, v74 row_newbcast:2 row_mask:0xf bank_mask:0xf// 000000005880: 0A9494FA FF01521A
	v_mul_f32_dpp v75, v26, v75 row_newbcast:3 row_mask:0xf bank_mask:0xf// 000000005888: 0A9696FA FF01531A
	v_mul_f32_dpp v76, v26, v76 row_newbcast:0 row_mask:0xf bank_mask:0xf// 000000005890: 0A9898FA FF01501A
	v_mul_f32_dpp v77, v26, v77 row_newbcast:1 row_mask:0xf bank_mask:0xf// 000000005898: 0A9A9AFA FF01511A
	v_mul_f32_dpp v78, v26, v78 row_newbcast:2 row_mask:0xf bank_mask:0xf// 0000000058A0: 0A9C9CFA FF01521A
	v_mul_f32_dpp v79, v26, v79 row_newbcast:3 row_mask:0xf bank_mask:0xf// 0000000058A8: 0A9E9EFA FF01531A
	v_mul_f32_dpp v80, v26, v80 row_newbcast:0 row_mask:0xf bank_mask:0xf// 0000000058B0: 0AA0A0FA FF01501A
	v_mul_f32_dpp v81, v26, v81 row_newbcast:1 row_mask:0xf bank_mask:0xf// 0000000058B8: 0AA2A2FA FF01511A
	v_mul_f32_dpp v82, v26, v82 row_newbcast:2 row_mask:0xf bank_mask:0xf// 0000000058C0: 0AA4A4FA FF01521A
	v_mul_f32_dpp v83, v26, v83 row_newbcast:3 row_mask:0xf bank_mask:0xf// 0000000058C8: 0AA6A6FA FF01531A
	v_mul_f32_dpp v84, v26, v84 row_newbcast:0 row_mask:0xf bank_mask:0xf// 0000000058D0: 0AA8A8FA FF01501A
	v_mul_f32_dpp v85, v26, v85 row_newbcast:1 row_mask:0xf bank_mask:0xf// 0000000058D8: 0AAAAAFA FF01511A
	v_mul_f32_dpp v86, v26, v86 row_newbcast:2 row_mask:0xf bank_mask:0xf// 0000000058E0: 0AACACFA FF01521A
	v_mul_f32_dpp v87, v26, v87 row_newbcast:3 row_mask:0xf bank_mask:0xf// 0000000058E8: 0AAEAEFA FF01531A
	v_mul_f32_e32 v32, v32, v88                                // 0000000058F0: 0A40B120
	v_mov_b32_e32 v4, v32                                      // 0000000058F4: 7E080320
	v_mov_b32_e32 v5, v4                                       // 0000000058F8: 7E0A0304
	v_pk_mul_f32 v[56:57], v[4:5], v[56:57]                    // 0000000058FC: D3B14038 18027104
	v_pk_mul_f32 v[72:73], v[4:5], v[72:73]                    // 000000005904: D3B14048 18029104
	v_pk_mul_f32 v[58:59], v[4:5], v[58:59]                    // 00000000590C: D3B1403A 18027504
	v_pk_mul_f32 v[74:75], v[4:5], v[74:75]                    // 000000005914: D3B1404A 18029504
	v_mul_f32_e32 v33, v33, v89                                // 00000000591C: 0A42B321
	v_mov_b32_e32 v4, v33                                      // 000000005920: 7E080321
	v_mov_b32_e32 v5, v4                                       // 000000005924: 7E0A0304
	v_pk_mul_f32 v[60:61], v[4:5], v[60:61]                    // 000000005928: D3B1403C 18027904
	v_pk_mul_f32 v[76:77], v[4:5], v[76:77]                    // 000000005930: D3B1404C 18029904
	v_pk_mul_f32 v[62:63], v[4:5], v[62:63]                    // 000000005938: D3B1403E 18027D04
	v_pk_mul_f32 v[78:79], v[4:5], v[78:79]                    // 000000005940: D3B1404E 18029D04
	v_mul_f32_e32 v34, v34, v90                                // 000000005948: 0A44B522
	v_mov_b32_e32 v4, v34                                      // 00000000594C: 7E080322
	v_mov_b32_e32 v5, v4                                       // 000000005950: 7E0A0304
	v_pk_mul_f32 v[64:65], v[4:5], v[64:65]                    // 000000005954: D3B14040 18028104
	v_pk_mul_f32 v[80:81], v[4:5], v[80:81]                    // 00000000595C: D3B14050 1802A104
	v_pk_mul_f32 v[66:67], v[4:5], v[66:67]                    // 000000005964: D3B14042 18028504
	v_pk_mul_f32 v[82:83], v[4:5], v[82:83]                    // 00000000596C: D3B14052 1802A504
	v_mul_f32_e32 v35, v35, v91                                // 000000005974: 0A46B723
	v_mov_b32_e32 v4, v35                                      // 000000005978: 7E080323
	v_mov_b32_e32 v5, v4                                       // 00000000597C: 7E0A0304
	v_pk_mul_f32 v[68:69], v[4:5], v[68:69]                    // 000000005980: D3B14044 18028904
	v_pk_mul_f32 v[84:85], v[4:5], v[84:85]                    // 000000005988: D3B14054 1802A904
	v_pk_mul_f32 v[70:71], v[4:5], v[70:71]                    // 000000005990: D3B14046 18028D04
	v_pk_mul_f32 v[86:87], v[4:5], v[86:87]                    // 000000005998: D3B14056 1802AD04
	s_cmp_eq_u32 s88, 0                                        // 0000000059A0: BF068058
	s_cbranch_scc0 label_0EF6                                  // 0000000059A4: BF840309
	s_cmp_eq_u32 s89, 0                                        // 0000000059A8: BF068059
	s_cbranch_scc1 label_0C94                                  // 0000000059AC: BF8500A5
	v_mov_b32_e32 v8, v1                                       // 0000000059B0: 7E100301
	v_mov_b32_e32 v9, v1                                       // 0000000059B4: 7E120301
	s_mov_b32 s60, s6                                          // 0000000059B8: BEBC0006
	s_mov_b32 s61, s6                                          // 0000000059BC: BEBD0006
	v_pk_mul_f32 v[4:5], v[56:57], v[56:57]                    // 0000000059C0: D3B14004 18027138
	v_pk_mul_f32 v[6:7], v[58:59], v[58:59]                    // 0000000059C8: D3B14006 1802753A
	v_pk_fma_f32 v[4:5], v[4:5], s[78:79], v[8:9]              // 0000000059D0: D3B04004 1C209D04
	v_pk_fma_f32 v[6:7], v[6:7], s[78:79], v[8:9]              // 0000000059D8: D3B04006 1C209D06
	v_pk_mul_f32 v[4:5], v[4:5], v[56:57]                      // 0000000059E0: D3B14004 18027104
	v_pk_mul_f32 v[6:7], v[6:7], v[58:59]                      // 0000000059E8: D3B14006 18027506
	v_pk_mul_f32 v[4:5], v[4:5], s[60:61]                      // 0000000059F0: D3B14004 18007904
	v_pk_mul_f32 v[6:7], v[6:7], s[60:61]                      // 0000000059F8: D3B14006 18007906
	v_exp_f32_e32 v4, v4                                       // 000000005A00: 7E084104
	v_exp_f32_e32 v5, v5                                       // 000000005A04: 7E0A4105
	v_exp_f32_e32 v6, v6                                       // 000000005A08: 7E0C4106
	v_exp_f32_e32 v7, v7                                       // 000000005A0C: 7E0E4107
	v_add_f32_e64 v4, v4, 1.0                                  // 000000005A10: D1010004 0001E504
	v_add_f32_e64 v5, v5, 1.0                                  // 000000005A18: D1010005 0001E505
	v_add_f32_e64 v6, v6, 1.0                                  // 000000005A20: D1010006 0001E506
	v_add_f32_e64 v7, v7, 1.0                                  // 000000005A28: D1010007 0001E507
	v_rcp_f32_e32 v4, v4                                       // 000000005A30: 7E084504
	v_rcp_f32_e32 v5, v5                                       // 000000005A34: 7E0A4505
	v_rcp_f32_e32 v6, v6                                       // 000000005A38: 7E0C4506
	v_rcp_f32_e32 v7, v7                                       // 000000005A3C: 7E0E4507
	v_mul_f32_e32 v56, v56, v4                                 // 000000005A40: 0A700938
	v_mul_f32_e32 v57, v57, v5                                 // 000000005A44: 0A720B39
	v_mul_f32_e32 v58, v58, v6                                 // 000000005A48: 0A740D3A
	v_mul_f32_e32 v59, v59, v7                                 // 000000005A4C: 0A760F3B
	v_mul_f32_e32 v56, v56, v72                                // 000000005A50: 0A709138
	v_mul_f32_e32 v57, v57, v73                                // 000000005A54: 0A729339
	v_mul_f32_e32 v58, v58, v74                                // 000000005A58: 0A74953A
	v_mul_f32_e32 v59, v59, v75                                // 000000005A5C: 0A76973B
	v_pk_mul_f32 v[4:5], v[60:61], v[60:61]                    // 000000005A60: D3B14004 1802793C
	v_pk_mul_f32 v[6:7], v[62:63], v[62:63]                    // 000000005A68: D3B14006 18027D3E
	v_pk_fma_f32 v[4:5], v[4:5], s[78:79], v[8:9]              // 000000005A70: D3B04004 1C209D04
	v_pk_fma_f32 v[6:7], v[6:7], s[78:79], v[8:9]              // 000000005A78: D3B04006 1C209D06
	v_pk_mul_f32 v[4:5], v[4:5], v[60:61]                      // 000000005A80: D3B14004 18027904
	v_pk_mul_f32 v[6:7], v[6:7], v[62:63]                      // 000000005A88: D3B14006 18027D06
	v_pk_mul_f32 v[4:5], v[4:5], s[60:61]                      // 000000005A90: D3B14004 18007904
	v_pk_mul_f32 v[6:7], v[6:7], s[60:61]                      // 000000005A98: D3B14006 18007906
	v_exp_f32_e32 v4, v4                                       // 000000005AA0: 7E084104
	v_exp_f32_e32 v5, v5                                       // 000000005AA4: 7E0A4105
	v_exp_f32_e32 v6, v6                                       // 000000005AA8: 7E0C4106
	v_exp_f32_e32 v7, v7                                       // 000000005AAC: 7E0E4107
	v_add_f32_e64 v4, v4, 1.0                                  // 000000005AB0: D1010004 0001E504
	v_add_f32_e64 v5, v5, 1.0                                  // 000000005AB8: D1010005 0001E505
	v_add_f32_e64 v6, v6, 1.0                                  // 000000005AC0: D1010006 0001E506
	v_add_f32_e64 v7, v7, 1.0                                  // 000000005AC8: D1010007 0001E507
	v_rcp_f32_e32 v4, v4                                       // 000000005AD0: 7E084504
	v_rcp_f32_e32 v5, v5                                       // 000000005AD4: 7E0A4505
	v_rcp_f32_e32 v6, v6                                       // 000000005AD8: 7E0C4506
	v_rcp_f32_e32 v7, v7                                       // 000000005ADC: 7E0E4507
	v_mul_f32_e32 v60, v60, v4                                 // 000000005AE0: 0A78093C
	v_mul_f32_e32 v61, v61, v5                                 // 000000005AE4: 0A7A0B3D
	v_mul_f32_e32 v62, v62, v6                                 // 000000005AE8: 0A7C0D3E
	v_mul_f32_e32 v63, v63, v7                                 // 000000005AEC: 0A7E0F3F
	v_mul_f32_e32 v60, v60, v76                                // 000000005AF0: 0A78993C
	v_mul_f32_e32 v61, v61, v77                                // 000000005AF4: 0A7A9B3D
	v_mul_f32_e32 v62, v62, v78                                // 000000005AF8: 0A7C9D3E
	v_mul_f32_e32 v63, v63, v79                                // 000000005AFC: 0A7E9F3F
	v_pk_mul_f32 v[4:5], v[64:65], v[64:65]                    // 000000005B00: D3B14004 18028140
	v_pk_mul_f32 v[6:7], v[66:67], v[66:67]                    // 000000005B08: D3B14006 18028542
	v_pk_fma_f32 v[4:5], v[4:5], s[78:79], v[8:9]              // 000000005B10: D3B04004 1C209D04
	v_pk_fma_f32 v[6:7], v[6:7], s[78:79], v[8:9]              // 000000005B18: D3B04006 1C209D06
	v_pk_mul_f32 v[4:5], v[4:5], v[64:65]                      // 000000005B20: D3B14004 18028104
	v_pk_mul_f32 v[6:7], v[6:7], v[66:67]                      // 000000005B28: D3B14006 18028506
	v_pk_mul_f32 v[4:5], v[4:5], s[60:61]                      // 000000005B30: D3B14004 18007904
	v_pk_mul_f32 v[6:7], v[6:7], s[60:61]                      // 000000005B38: D3B14006 18007906
	v_exp_f32_e32 v4, v4                                       // 000000005B40: 7E084104
	v_exp_f32_e32 v5, v5                                       // 000000005B44: 7E0A4105
	v_exp_f32_e32 v6, v6                                       // 000000005B48: 7E0C4106
	v_exp_f32_e32 v7, v7                                       // 000000005B4C: 7E0E4107
	v_add_f32_e64 v4, v4, 1.0                                  // 000000005B50: D1010004 0001E504
	v_add_f32_e64 v5, v5, 1.0                                  // 000000005B58: D1010005 0001E505
	v_add_f32_e64 v6, v6, 1.0                                  // 000000005B60: D1010006 0001E506
	v_add_f32_e64 v7, v7, 1.0                                  // 000000005B68: D1010007 0001E507
	v_rcp_f32_e32 v4, v4                                       // 000000005B70: 7E084504
	v_rcp_f32_e32 v5, v5                                       // 000000005B74: 7E0A4505
	v_rcp_f32_e32 v6, v6                                       // 000000005B78: 7E0C4506
	v_rcp_f32_e32 v7, v7                                       // 000000005B7C: 7E0E4507
	v_mul_f32_e32 v64, v64, v4                                 // 000000005B80: 0A800940
	v_mul_f32_e32 v65, v65, v5                                 // 000000005B84: 0A820B41
	v_mul_f32_e32 v66, v66, v6                                 // 000000005B88: 0A840D42
	v_mul_f32_e32 v67, v67, v7                                 // 000000005B8C: 0A860F43
	v_mul_f32_e32 v64, v64, v80                                // 000000005B90: 0A80A140
	v_mul_f32_e32 v65, v65, v81                                // 000000005B94: 0A82A341
	v_mul_f32_e32 v66, v66, v82                                // 000000005B98: 0A84A542
	v_mul_f32_e32 v67, v67, v83                                // 000000005B9C: 0A86A743
	v_pk_mul_f32 v[4:5], v[68:69], v[68:69]                    // 000000005BA0: D3B14004 18028944
	v_pk_mul_f32 v[6:7], v[70:71], v[70:71]                    // 000000005BA8: D3B14006 18028D46
	v_pk_fma_f32 v[4:5], v[4:5], s[78:79], v[8:9]              // 000000005BB0: D3B04004 1C209D04
	v_pk_fma_f32 v[6:7], v[6:7], s[78:79], v[8:9]              // 000000005BB8: D3B04006 1C209D06
	v_pk_mul_f32 v[4:5], v[4:5], v[68:69]                      // 000000005BC0: D3B14004 18028904
	v_pk_mul_f32 v[6:7], v[6:7], v[70:71]                      // 000000005BC8: D3B14006 18028D06
	v_pk_mul_f32 v[4:5], v[4:5], s[60:61]                      // 000000005BD0: D3B14004 18007904
	v_pk_mul_f32 v[6:7], v[6:7], s[60:61]                      // 000000005BD8: D3B14006 18007906
	v_exp_f32_e32 v4, v4                                       // 000000005BE0: 7E084104
	v_exp_f32_e32 v5, v5                                       // 000000005BE4: 7E0A4105
	v_exp_f32_e32 v6, v6                                       // 000000005BE8: 7E0C4106
	v_exp_f32_e32 v7, v7                                       // 000000005BEC: 7E0E4107
	v_add_f32_e64 v4, v4, 1.0                                  // 000000005BF0: D1010004 0001E504
	v_add_f32_e64 v5, v5, 1.0                                  // 000000005BF8: D1010005 0001E505
	v_add_f32_e64 v6, v6, 1.0                                  // 000000005C00: D1010006 0001E506
	v_add_f32_e64 v7, v7, 1.0                                  // 000000005C08: D1010007 0001E507
	v_rcp_f32_e32 v4, v4                                       // 000000005C10: 7E084504
	v_rcp_f32_e32 v5, v5                                       // 000000005C14: 7E0A4505
	v_rcp_f32_e32 v6, v6                                       // 000000005C18: 7E0C4506
	v_rcp_f32_e32 v7, v7                                       // 000000005C1C: 7E0E4507
	v_mul_f32_e32 v68, v68, v4                                 // 000000005C20: 0A880944
	v_mul_f32_e32 v69, v69, v5                                 // 000000005C24: 0A8A0B45
	v_mul_f32_e32 v70, v70, v6                                 // 000000005C28: 0A8C0D46
	v_mul_f32_e32 v71, v71, v7                                 // 000000005C2C: 0A8E0F47
	v_mul_f32_e32 v68, v68, v84                                // 000000005C30: 0A88A944
	v_mul_f32_e32 v69, v69, v85                                // 000000005C34: 0A8AAB45
	v_mul_f32_e32 v70, v70, v86                                // 000000005C38: 0A8CAD46
	v_mul_f32_e32 v71, v71, v87                                // 000000005C3C: 0A8EAF47
	s_branch label_0D14                                        // 000000005C40: BF820080

0000000000005c44 <label_0C94>:
	v_mul_f32_e64 v4, -v56, s6                                 // 000000005C44: D1050004 20000D38
	v_mul_f32_e64 v5, -v57, s6                                 // 000000005C4C: D1050005 20000D39
	v_mul_f32_e64 v6, -v58, s6                                 // 000000005C54: D1050006 20000D3A
	v_mul_f32_e64 v7, -v59, s6                                 // 000000005C5C: D1050007 20000D3B
	v_exp_f32_e32 v4, v4                                       // 000000005C64: 7E084104
	v_exp_f32_e32 v5, v5                                       // 000000005C68: 7E0A4105
	v_exp_f32_e32 v6, v6                                       // 000000005C6C: 7E0C4106
	v_exp_f32_e32 v7, v7                                       // 000000005C70: 7E0E4107
	v_add_f32_e64 v4, v4, 1.0                                  // 000000005C74: D1010004 0001E504
	v_add_f32_e64 v5, v5, 1.0                                  // 000000005C7C: D1010005 0001E505
	v_add_f32_e64 v6, v6, 1.0                                  // 000000005C84: D1010006 0001E506
	v_add_f32_e64 v7, v7, 1.0                                  // 000000005C8C: D1010007 0001E507
	v_rcp_f32_e32 v4, v4                                       // 000000005C94: 7E084504
	v_rcp_f32_e32 v5, v5                                       // 000000005C98: 7E0A4505
	v_rcp_f32_e32 v6, v6                                       // 000000005C9C: 7E0C4506
	v_rcp_f32_e32 v7, v7                                       // 000000005CA0: 7E0E4507
	v_mul_f32_e32 v56, v56, v4                                 // 000000005CA4: 0A700938
	v_mul_f32_e32 v57, v57, v5                                 // 000000005CA8: 0A720B39
	v_mul_f32_e32 v58, v58, v6                                 // 000000005CAC: 0A740D3A
	v_mul_f32_e32 v59, v59, v7                                 // 000000005CB0: 0A760F3B
	v_mul_f32_e32 v56, v56, v72                                // 000000005CB4: 0A709138
	v_mul_f32_e32 v57, v57, v73                                // 000000005CB8: 0A729339
	v_mul_f32_e32 v58, v58, v74                                // 000000005CBC: 0A74953A
	v_mul_f32_e32 v59, v59, v75                                // 000000005CC0: 0A76973B
	v_mul_f32_e64 v4, -v60, s6                                 // 000000005CC4: D1050004 20000D3C
	v_mul_f32_e64 v5, -v61, s6                                 // 000000005CCC: D1050005 20000D3D
	v_mul_f32_e64 v6, -v62, s6                                 // 000000005CD4: D1050006 20000D3E
	v_mul_f32_e64 v7, -v63, s6                                 // 000000005CDC: D1050007 20000D3F
	v_exp_f32_e32 v4, v4                                       // 000000005CE4: 7E084104
	v_exp_f32_e32 v5, v5                                       // 000000005CE8: 7E0A4105
	v_exp_f32_e32 v6, v6                                       // 000000005CEC: 7E0C4106
	v_exp_f32_e32 v7, v7                                       // 000000005CF0: 7E0E4107
	v_add_f32_e64 v4, v4, 1.0                                  // 000000005CF4: D1010004 0001E504
	v_add_f32_e64 v5, v5, 1.0                                  // 000000005CFC: D1010005 0001E505
	v_add_f32_e64 v6, v6, 1.0                                  // 000000005D04: D1010006 0001E506
	v_add_f32_e64 v7, v7, 1.0                                  // 000000005D0C: D1010007 0001E507
	v_rcp_f32_e32 v4, v4                                       // 000000005D14: 7E084504
	v_rcp_f32_e32 v5, v5                                       // 000000005D18: 7E0A4505
	v_rcp_f32_e32 v6, v6                                       // 000000005D1C: 7E0C4506
	v_rcp_f32_e32 v7, v7                                       // 000000005D20: 7E0E4507
	v_mul_f32_e32 v60, v60, v4                                 // 000000005D24: 0A78093C
	v_mul_f32_e32 v61, v61, v5                                 // 000000005D28: 0A7A0B3D
	v_mul_f32_e32 v62, v62, v6                                 // 000000005D2C: 0A7C0D3E
	v_mul_f32_e32 v63, v63, v7                                 // 000000005D30: 0A7E0F3F
	v_mul_f32_e32 v60, v60, v76                                // 000000005D34: 0A78993C
	v_mul_f32_e32 v61, v61, v77                                // 000000005D38: 0A7A9B3D
	v_mul_f32_e32 v62, v62, v78                                // 000000005D3C: 0A7C9D3E
	v_mul_f32_e32 v63, v63, v79                                // 000000005D40: 0A7E9F3F
	v_mul_f32_e64 v4, -v64, s6                                 // 000000005D44: D1050004 20000D40
	v_mul_f32_e64 v5, -v65, s6                                 // 000000005D4C: D1050005 20000D41
	v_mul_f32_e64 v6, -v66, s6                                 // 000000005D54: D1050006 20000D42
	v_mul_f32_e64 v7, -v67, s6                                 // 000000005D5C: D1050007 20000D43
	v_exp_f32_e32 v4, v4                                       // 000000005D64: 7E084104
	v_exp_f32_e32 v5, v5                                       // 000000005D68: 7E0A4105
	v_exp_f32_e32 v6, v6                                       // 000000005D6C: 7E0C4106
	v_exp_f32_e32 v7, v7                                       // 000000005D70: 7E0E4107
	v_add_f32_e64 v4, v4, 1.0                                  // 000000005D74: D1010004 0001E504
	v_add_f32_e64 v5, v5, 1.0                                  // 000000005D7C: D1010005 0001E505
	v_add_f32_e64 v6, v6, 1.0                                  // 000000005D84: D1010006 0001E506
	v_add_f32_e64 v7, v7, 1.0                                  // 000000005D8C: D1010007 0001E507
	v_rcp_f32_e32 v4, v4                                       // 000000005D94: 7E084504
	v_rcp_f32_e32 v5, v5                                       // 000000005D98: 7E0A4505
	v_rcp_f32_e32 v6, v6                                       // 000000005D9C: 7E0C4506
	v_rcp_f32_e32 v7, v7                                       // 000000005DA0: 7E0E4507
	v_mul_f32_e32 v64, v64, v4                                 // 000000005DA4: 0A800940
	v_mul_f32_e32 v65, v65, v5                                 // 000000005DA8: 0A820B41
	v_mul_f32_e32 v66, v66, v6                                 // 000000005DAC: 0A840D42
	v_mul_f32_e32 v67, v67, v7                                 // 000000005DB0: 0A860F43
	v_mul_f32_e32 v64, v64, v80                                // 000000005DB4: 0A80A140
	v_mul_f32_e32 v65, v65, v81                                // 000000005DB8: 0A82A341
	v_mul_f32_e32 v66, v66, v82                                // 000000005DBC: 0A84A542
	v_mul_f32_e32 v67, v67, v83                                // 000000005DC0: 0A86A743
	v_mul_f32_e64 v4, -v68, s6                                 // 000000005DC4: D1050004 20000D44
	v_mul_f32_e64 v5, -v69, s6                                 // 000000005DCC: D1050005 20000D45
	v_mul_f32_e64 v6, -v70, s6                                 // 000000005DD4: D1050006 20000D46
	v_mul_f32_e64 v7, -v71, s6                                 // 000000005DDC: D1050007 20000D47
	v_exp_f32_e32 v4, v4                                       // 000000005DE4: 7E084104
	v_exp_f32_e32 v5, v5                                       // 000000005DE8: 7E0A4105
	v_exp_f32_e32 v6, v6                                       // 000000005DEC: 7E0C4106
	v_exp_f32_e32 v7, v7                                       // 000000005DF0: 7E0E4107
	v_add_f32_e64 v4, v4, 1.0                                  // 000000005DF4: D1010004 0001E504
	v_add_f32_e64 v5, v5, 1.0                                  // 000000005DFC: D1010005 0001E505
	v_add_f32_e64 v6, v6, 1.0                                  // 000000005E04: D1010006 0001E506
	v_add_f32_e64 v7, v7, 1.0                                  // 000000005E0C: D1010007 0001E507
	v_rcp_f32_e32 v4, v4                                       // 000000005E14: 7E084504
	v_rcp_f32_e32 v5, v5                                       // 000000005E18: 7E0A4505
	v_rcp_f32_e32 v6, v6                                       // 000000005E1C: 7E0C4506
	v_rcp_f32_e32 v7, v7                                       // 000000005E20: 7E0E4507
	v_mul_f32_e32 v68, v68, v4                                 // 000000005E24: 0A880944
	v_mul_f32_e32 v69, v69, v5                                 // 000000005E28: 0A8A0B45
	v_mul_f32_e32 v70, v70, v6                                 // 000000005E2C: 0A8C0D46
	v_mul_f32_e32 v71, v71, v7                                 // 000000005E30: 0A8E0F47
	v_mul_f32_e32 v68, v68, v84                                // 000000005E34: 0A88A944
	v_mul_f32_e32 v69, v69, v85                                // 000000005E38: 0A8AAB45
	v_mul_f32_e32 v70, v70, v86                                // 000000005E3C: 0A8CAD46
	v_mul_f32_e32 v71, v71, v87                                // 000000005E40: 0A8EAF47

0000000000005e44 <label_0D14>:
	v_cmp_u_f32_e64 s[46:47], v56, v56                         // 000000005E44: D048002E 00027138
	v_add3_u32 v16, v56, v19, 1                                // 000000005E4C: D1FF0010 02062738
	v_cndmask_b32_e64 v4, v16, v18, s[46:47]                   // 000000005E54: D1000004 00BA2510
	v_cmp_u_f32_e64 s[46:47], v57, v57                         // 000000005E5C: D048002E 00027339
	v_add3_u32 v16, v57, v19, 1                                // 000000005E64: D1FF0010 02062739
	v_cndmask_b32_e64 v5, v16, v18, s[46:47]                   // 000000005E6C: D1000005 00BA2510
	v_perm_b32 v56, v5, v4, s52                                // 000000005E74: D1ED0038 00D20905
	v_cmp_u_f32_e64 s[46:47], v58, v58                         // 000000005E7C: D048002E 0002753A
	v_add3_u32 v16, v58, v19, 1                                // 000000005E84: D1FF0010 0206273A
	v_cndmask_b32_e64 v4, v16, v18, s[46:47]                   // 000000005E8C: D1000004 00BA2510
	v_cmp_u_f32_e64 s[46:47], v59, v59                         // 000000005E94: D048002E 0002773B
	v_add3_u32 v16, v59, v19, 1                                // 000000005E9C: D1FF0010 0206273B
	v_cndmask_b32_e64 v5, v16, v18, s[46:47]                   // 000000005EA4: D1000005 00BA2510
	v_perm_b32 v57, v5, v4, s52                                // 000000005EAC: D1ED0039 00D20905
	v_cmp_u_f32_e64 s[46:47], v60, v60                         // 000000005EB4: D048002E 0002793C
	v_add3_u32 v16, v60, v19, 1                                // 000000005EBC: D1FF0010 0206273C
	v_cndmask_b32_e64 v4, v16, v18, s[46:47]                   // 000000005EC4: D1000004 00BA2510
	v_cmp_u_f32_e64 s[46:47], v61, v61                         // 000000005ECC: D048002E 00027B3D
	v_add3_u32 v16, v61, v19, 1                                // 000000005ED4: D1FF0010 0206273D
	v_cndmask_b32_e64 v5, v16, v18, s[46:47]                   // 000000005EDC: D1000005 00BA2510
	v_perm_b32 v58, v5, v4, s52                                // 000000005EE4: D1ED003A 00D20905
	v_cmp_u_f32_e64 s[46:47], v62, v62                         // 000000005EEC: D048002E 00027D3E
	v_add3_u32 v16, v62, v19, 1                                // 000000005EF4: D1FF0010 0206273E
	v_cndmask_b32_e64 v4, v16, v18, s[46:47]                   // 000000005EFC: D1000004 00BA2510
	v_cmp_u_f32_e64 s[46:47], v63, v63                         // 000000005F04: D048002E 00027F3F
	v_add3_u32 v16, v63, v19, 1                                // 000000005F0C: D1FF0010 0206273F
	v_cndmask_b32_e64 v5, v16, v18, s[46:47]                   // 000000005F14: D1000005 00BA2510
	v_perm_b32 v59, v5, v4, s52                                // 000000005F1C: D1ED003B 00D20905
	v_cmp_u_f32_e64 s[46:47], v64, v64                         // 000000005F24: D048002E 00028140
	v_add3_u32 v16, v64, v19, 1                                // 000000005F2C: D1FF0010 02062740
	v_cndmask_b32_e64 v4, v16, v18, s[46:47]                   // 000000005F34: D1000004 00BA2510
	v_cmp_u_f32_e64 s[46:47], v65, v65                         // 000000005F3C: D048002E 00028341
	v_add3_u32 v16, v65, v19, 1                                // 000000005F44: D1FF0010 02062741
	v_cndmask_b32_e64 v5, v16, v18, s[46:47]                   // 000000005F4C: D1000005 00BA2510
	v_perm_b32 v60, v5, v4, s52                                // 000000005F54: D1ED003C 00D20905
	v_cmp_u_f32_e64 s[46:47], v66, v66                         // 000000005F5C: D048002E 00028542
	v_add3_u32 v16, v66, v19, 1                                // 000000005F64: D1FF0010 02062742
	v_cndmask_b32_e64 v4, v16, v18, s[46:47]                   // 000000005F6C: D1000004 00BA2510
	v_cmp_u_f32_e64 s[46:47], v67, v67                         // 000000005F74: D048002E 00028743
	v_add3_u32 v16, v67, v19, 1                                // 000000005F7C: D1FF0010 02062743
	v_cndmask_b32_e64 v5, v16, v18, s[46:47]                   // 000000005F84: D1000005 00BA2510
	v_perm_b32 v61, v5, v4, s52                                // 000000005F8C: D1ED003D 00D20905
	v_cmp_u_f32_e64 s[46:47], v68, v68                         // 000000005F94: D048002E 00028944
	v_add3_u32 v16, v68, v19, 1                                // 000000005F9C: D1FF0010 02062744
	v_cndmask_b32_e64 v4, v16, v18, s[46:47]                   // 000000005FA4: D1000004 00BA2510
	v_cmp_u_f32_e64 s[46:47], v69, v69                         // 000000005FAC: D048002E 00028B45
	v_add3_u32 v16, v69, v19, 1                                // 000000005FB4: D1FF0010 02062745
	v_cndmask_b32_e64 v5, v16, v18, s[46:47]                   // 000000005FBC: D1000005 00BA2510
	v_perm_b32 v62, v5, v4, s52                                // 000000005FC4: D1ED003E 00D20905
	v_cmp_u_f32_e64 s[46:47], v70, v70                         // 000000005FCC: D048002E 00028D46
	v_add3_u32 v16, v70, v19, 1                                // 000000005FD4: D1FF0010 02062746
	v_cndmask_b32_e64 v4, v16, v18, s[46:47]                   // 000000005FDC: D1000004 00BA2510
	v_cmp_u_f32_e64 s[46:47], v71, v71                         // 000000005FE4: D048002E 00028F47
	v_add3_u32 v16, v71, v19, 1                                // 000000005FEC: D1FF0010 02062747
	v_cndmask_b32_e64 v5, v16, v18, s[46:47]                   // 000000005FF4: D1000005 00BA2510
	v_perm_b32 v63, v5, v4, s52                                // 000000005FFC: D1ED003F 00D20905
	ds_write_b64 v20, v[56:57]                                 // 000000006004: D89A0000 00003814
	ds_write_b64 v20, v[58:59] offset:2176                     // 00000000600C: D89A0880 00003A14
	ds_write_b64 v20, v[60:61] offset:4352                     // 000000006014: D89A1100 00003C14
	ds_write_b64 v20, v[62:63] offset:6528                     // 00000000601C: D89A1980 00003E14
	v_lshrrev_b32_e32 v4, 5, v0                                // 000000006024: 20080085
	v_xor_b32_e32 v5, 1, v4                                    // 000000006028: 2A0A0881
	s_mul_i32 s60, s65, 2                                      // 00000000602C: 923C8241
	s_cmp_eq_u32 s88, 0                                        // 000000006030: BF068058
	s_cselect_b32 s61, 1, 4                                    // 000000006034: 853D8481
	s_mul_i32 s60, s61, s60                                    // 000000006038: 923C3C3D
	v_readlane_b32 s82, v3, 0                                  // 00000000603C: D2890052 00010103
	s_lshr_b32 s61, s82, 24                                    // 000000006044: 8F3D9852
	s_and_b32 s82, s82, 0xffffff                               // 000000006048: 8652FF52 00FFFFFF
	s_mul_i32 s82, s82, s71                                    // 000000006050: 92524752
	s_mul_i32 s61, s60, s61                                    // 000000006054: 923D3D3C
	s_add_u32 s82, s82, s61                                    // 000000006058: 80523D52
	v_mul_lo_u32 v6, v5, s82                                   // 00000000605C: D2850006 0000A505
	v_readlane_b32 s82, v3, 1                                  // 000000006064: D2890052 00010303
	s_lshr_b32 s61, s82, 24                                    // 00000000606C: 8F3D9852
	s_and_b32 s82, s82, 0xffffff                               // 000000006070: 8652FF52 00FFFFFF
	s_mul_i32 s82, s82, s71                                    // 000000006078: 92524752
	s_mul_i32 s61, s60, s61                                    // 00000000607C: 923D3D3C
	s_add_u32 s82, s82, s61                                    // 000000006080: 80523D52
	v_mul_lo_u32 v7, v4, s82                                   // 000000006084: D2850007 0000A504
	v_add_u32_e32 v44, v6, v7                                  // 00000000608C: 68580F06
	v_readlane_b32 s82, v3, 2                                  // 000000006090: D2890052 00010503
	s_lshr_b32 s61, s82, 24                                    // 000000006098: 8F3D9852
	s_and_b32 s82, s82, 0xffffff                               // 00000000609C: 8652FF52 00FFFFFF
	s_mul_i32 s82, s82, s71                                    // 0000000060A4: 92524752
	s_mul_i32 s61, s60, s61                                    // 0000000060A8: 923D3D3C
	s_add_u32 s82, s82, s61                                    // 0000000060AC: 80523D52
	v_mul_lo_u32 v6, v5, s82                                   // 0000000060B0: D2850006 0000A505
	v_readlane_b32 s82, v3, 3                                  // 0000000060B8: D2890052 00010703
	s_lshr_b32 s61, s82, 24                                    // 0000000060C0: 8F3D9852
	s_and_b32 s82, s82, 0xffffff                               // 0000000060C4: 8652FF52 00FFFFFF
	s_mul_i32 s82, s82, s71                                    // 0000000060CC: 92524752
	s_mul_i32 s61, s60, s61                                    // 0000000060D0: 923D3D3C
	s_add_u32 s82, s82, s61                                    // 0000000060D4: 80523D52
	v_mul_lo_u32 v7, v4, s82                                   // 0000000060D8: D2850007 0000A504
	v_add_u32_e32 v45, v6, v7                                  // 0000000060E0: 685A0F06
	v_readlane_b32 s82, v3, 4                                  // 0000000060E4: D2890052 00010903
	s_lshr_b32 s61, s82, 24                                    // 0000000060EC: 8F3D9852
	s_and_b32 s82, s82, 0xffffff                               // 0000000060F0: 8652FF52 00FFFFFF
	s_mul_i32 s82, s82, s71                                    // 0000000060F8: 92524752
	s_mul_i32 s61, s60, s61                                    // 0000000060FC: 923D3D3C
	s_add_u32 s82, s82, s61                                    // 000000006100: 80523D52
	v_mul_lo_u32 v6, v5, s82                                   // 000000006104: D2850006 0000A505
	v_readlane_b32 s82, v3, 5                                  // 00000000610C: D2890052 00010B03
	s_lshr_b32 s61, s82, 24                                    // 000000006114: 8F3D9852
	s_and_b32 s82, s82, 0xffffff                               // 000000006118: 8652FF52 00FFFFFF
	s_mul_i32 s82, s82, s71                                    // 000000006120: 92524752
	s_mul_i32 s61, s60, s61                                    // 000000006124: 923D3D3C
	s_add_u32 s82, s82, s61                                    // 000000006128: 80523D52
	v_mul_lo_u32 v7, v4, s82                                   // 00000000612C: D2850007 0000A504
	v_add_u32_e32 v46, v6, v7                                  // 000000006134: 685C0F06
	v_readlane_b32 s82, v3, 6                                  // 000000006138: D2890052 00010D03
	s_lshr_b32 s61, s82, 24                                    // 000000006140: 8F3D9852
	s_and_b32 s82, s82, 0xffffff                               // 000000006144: 8652FF52 00FFFFFF
	s_mul_i32 s82, s82, s71                                    // 00000000614C: 92524752
	s_mul_i32 s61, s60, s61                                    // 000000006150: 923D3D3C
	s_add_u32 s82, s82, s61                                    // 000000006154: 80523D52
	v_mul_lo_u32 v6, v5, s82                                   // 000000006158: D2850006 0000A505
	v_readlane_b32 s82, v3, 7                                  // 000000006160: D2890052 00010F03
	s_lshr_b32 s61, s82, 24                                    // 000000006168: 8F3D9852
	s_and_b32 s82, s82, 0xffffff                               // 00000000616C: 8652FF52 00FFFFFF
	s_mul_i32 s82, s82, s71                                    // 000000006174: 92524752
	s_mul_i32 s61, s60, s61                                    // 000000006178: 923D3D3C
	s_add_u32 s82, s82, s61                                    // 00000000617C: 80523D52
	v_mul_lo_u32 v7, v4, s82                                   // 000000006180: D2850007 0000A504
	v_add_u32_e32 v47, v6, v7                                  // 000000006188: 685E0F06
	v_readlane_b32 s82, v3, 8                                  // 00000000618C: D2890052 00011103
	s_lshr_b32 s61, s82, 24                                    // 000000006194: 8F3D9852
	s_and_b32 s82, s82, 0xffffff                               // 000000006198: 8652FF52 00FFFFFF
	s_mul_i32 s82, s82, s71                                    // 0000000061A0: 92524752
	s_mul_i32 s61, s60, s61                                    // 0000000061A4: 923D3D3C
	s_add_u32 s82, s82, s61                                    // 0000000061A8: 80523D52
	v_mul_lo_u32 v6, v5, s82                                   // 0000000061AC: D2850006 0000A505
	v_readlane_b32 s82, v3, 9                                  // 0000000061B4: D2890052 00011303
	s_lshr_b32 s61, s82, 24                                    // 0000000061BC: 8F3D9852
	s_and_b32 s82, s82, 0xffffff                               // 0000000061C0: 8652FF52 00FFFFFF
	s_mul_i32 s82, s82, s71                                    // 0000000061C8: 92524752
	s_mul_i32 s61, s60, s61                                    // 0000000061CC: 923D3D3C
	s_add_u32 s82, s82, s61                                    // 0000000061D0: 80523D52
	v_mul_lo_u32 v7, v4, s82                                   // 0000000061D4: D2850007 0000A504
	v_add_u32_e32 v48, v6, v7                                  // 0000000061DC: 68600F06
	v_readlane_b32 s82, v3, 10                                 // 0000000061E0: D2890052 00011503
	s_lshr_b32 s61, s82, 24                                    // 0000000061E8: 8F3D9852
	s_and_b32 s82, s82, 0xffffff                               // 0000000061EC: 8652FF52 00FFFFFF
	s_mul_i32 s82, s82, s71                                    // 0000000061F4: 92524752
	s_mul_i32 s61, s60, s61                                    // 0000000061F8: 923D3D3C
	s_add_u32 s82, s82, s61                                    // 0000000061FC: 80523D52
	v_mul_lo_u32 v6, v5, s82                                   // 000000006200: D2850006 0000A505
	v_readlane_b32 s82, v3, 11                                 // 000000006208: D2890052 00011703
	s_lshr_b32 s61, s82, 24                                    // 000000006210: 8F3D9852
	s_and_b32 s82, s82, 0xffffff                               // 000000006214: 8652FF52 00FFFFFF
	s_mul_i32 s82, s82, s71                                    // 00000000621C: 92524752
	s_mul_i32 s61, s60, s61                                    // 000000006220: 923D3D3C
	s_add_u32 s82, s82, s61                                    // 000000006224: 80523D52
	v_mul_lo_u32 v7, v4, s82                                   // 000000006228: D2850007 0000A504
	v_add_u32_e32 v49, v6, v7                                  // 000000006230: 68620F06
	v_readlane_b32 s82, v3, 12                                 // 000000006234: D2890052 00011903
	s_lshr_b32 s61, s82, 24                                    // 00000000623C: 8F3D9852
	s_and_b32 s82, s82, 0xffffff                               // 000000006240: 8652FF52 00FFFFFF
	s_mul_i32 s82, s82, s71                                    // 000000006248: 92524752
	s_mul_i32 s61, s60, s61                                    // 00000000624C: 923D3D3C
	s_add_u32 s82, s82, s61                                    // 000000006250: 80523D52
	v_mul_lo_u32 v6, v5, s82                                   // 000000006254: D2850006 0000A505
	v_readlane_b32 s82, v3, 13                                 // 00000000625C: D2890052 00011B03
	s_lshr_b32 s61, s82, 24                                    // 000000006264: 8F3D9852
	s_and_b32 s82, s82, 0xffffff                               // 000000006268: 8652FF52 00FFFFFF
	s_mul_i32 s82, s82, s71                                    // 000000006270: 92524752
	s_mul_i32 s61, s60, s61                                    // 000000006274: 923D3D3C
	s_add_u32 s82, s82, s61                                    // 000000006278: 80523D52
	v_mul_lo_u32 v7, v4, s82                                   // 00000000627C: D2850007 0000A504
	v_add_u32_e32 v50, v6, v7                                  // 000000006284: 68640F06
	v_readlane_b32 s82, v3, 14                                 // 000000006288: D2890052 00011D03
	s_lshr_b32 s61, s82, 24                                    // 000000006290: 8F3D9852
	s_and_b32 s82, s82, 0xffffff                               // 000000006294: 8652FF52 00FFFFFF
	s_mul_i32 s82, s82, s71                                    // 00000000629C: 92524752
	s_mul_i32 s61, s60, s61                                    // 0000000062A0: 923D3D3C
	s_add_u32 s82, s82, s61                                    // 0000000062A4: 80523D52
	v_mul_lo_u32 v6, v5, s82                                   // 0000000062A8: D2850006 0000A505
	v_readlane_b32 s82, v3, 15                                 // 0000000062B0: D2890052 00011F03
	s_lshr_b32 s61, s82, 24                                    // 0000000062B8: 8F3D9852
	s_and_b32 s82, s82, 0xffffff                               // 0000000062BC: 8652FF52 00FFFFFF
	s_mul_i32 s82, s82, s71                                    // 0000000062C4: 92524752
	s_mul_i32 s61, s60, s61                                    // 0000000062C8: 923D3D3C
	s_add_u32 s82, s82, s61                                    // 0000000062CC: 80523D52
	v_mul_lo_u32 v7, v4, s82                                   // 0000000062D0: D2850007 0000A504
	v_add_u32_e32 v51, v6, v7                                  // 0000000062D8: 68660F06
	v_and_b32_e32 v4, 31, v0                                   // 0000000062DC: 2608009F
	v_lshrrev_b32_e32 v4, 1, v4                                // 0000000062E0: 20080881
	s_cmp_eq_u32 s88, 0                                        // 0000000062E4: BF068058
	s_cselect_b32 s61, 2, 4                                    // 0000000062E8: 853D8482
	v_mul_lo_u32 v4, v4, s61                                   // 0000000062EC: D2850004 00007B04
	v_and_b32_e64 v5, v0, 1                                    // 0000000062F4: D1130005 00010300
	v_add_u32_e32 v4, v4, v5                                   // 0000000062FC: 68080B04
	v_lshlrev_b32_e32 v4, 2, v4                                // 000000006300: 24080882
	v_add_u32_e32 v44, v44, v4                                 // 000000006304: 6858092C
	v_add_u32_e32 v45, v45, v4                                 // 000000006308: 685A092D
	v_add_u32_e32 v46, v46, v4                                 // 00000000630C: 685C092E
	v_add_u32_e32 v47, v47, v4                                 // 000000006310: 685E092F
	v_add_u32_e32 v48, v48, v4                                 // 000000006314: 68600930
	v_add_u32_e32 v49, v49, v4                                 // 000000006318: 68620931
	v_add_u32_e32 v50, v50, v4                                 // 00000000631C: 68640932
	v_add_u32_e32 v51, v51, v4                                 // 000000006320: 68660933
	s_waitcnt lgkmcnt(0)                                       // 000000006324: BF8CC07F
	s_barrier                                                  // 000000006328: BF8A0000
	ds_read_b32 v56, v21                                       // 00000000632C: D86C0000 38000015
	ds_read_b32 v57, v21 offset:64                             // 000000006334: D86C0040 39000015
	ds_read_b32 v58, v21 offset:2176                           // 00000000633C: D86C0880 3A000015
	ds_read_b32 v59, v21 offset:2240                           // 000000006344: D86C08C0 3B000015
	ds_read_b32 v60, v21 offset:4352                           // 00000000634C: D86C1100 3C000015
	ds_read_b32 v61, v21 offset:4416                           // 000000006354: D86C1140 3D000015
	ds_read_b32 v62, v21 offset:6528                           // 00000000635C: D86C1980 3E000015
	ds_read_b32 v63, v21 offset:6592                           // 000000006364: D86C19C0 3F000015
	s_waitcnt lgkmcnt(0)                                       // 00000000636C: BF8CC07F
	s_mov_b32 s36, -1                                          // 000000006370: BEA400C1
	s_mov_b32 s37, -1                                          // 000000006374: BEA500C1
	v_mov_b32_e32 v7, 0                                        // 000000006378: 7E0E0280
	s_or_b32 s9, s9, 0x40000                                   // 00000000637C: 8709FF09 00040000
	s_mov_b64 exec, s[36:37]                                   // 000000006384: BEFE0124
	v_mov_b32_e32 v6, v44                                      // 000000006388: 7E0C032C
	s_mov_b64 s[60:61], 0                                      // 00000000638C: BEBC0180
	v_readlane_b32 s82, v3, 0                                  // 000000006390: D2890052 00010103
	s_and_b32 s82, s82, 0xffffff                               // 000000006398: 8652FF52 00FFFFFF
	s_cmp_lt_u32 s82, s66                                      // 0000000063A0: BF0A4252
	s_cselect_b32 s20, s36, s60                                // 0000000063A4: 85143C24
	v_readlane_b32 s82, v3, 1                                  // 0000000063A8: D2890052 00010303
	s_and_b32 s82, s82, 0xffffff                               // 0000000063B0: 8652FF52 00FFFFFF
	s_cmp_lt_u32 s82, s66                                      // 0000000063B8: BF0A4252
	s_cselect_b32 s21, s36, s60                                // 0000000063BC: 85153C24
	s_mov_b64 exec, s[20:21]                                   // 0000000063C0: BEFE0114
	buffer_store_dword v56, v6, s[8:11], 0 offen               // 0000000063C4: E0701000 80023806
	s_mov_b64 exec, s[36:37]                                   // 0000000063CC: BEFE0124
	v_mov_b32_e32 v6, v45                                      // 0000000063D0: 7E0C032D
	s_mov_b64 s[60:61], 0                                      // 0000000063D4: BEBC0180
	v_readlane_b32 s82, v3, 2                                  // 0000000063D8: D2890052 00010503
	s_and_b32 s82, s82, 0xffffff                               // 0000000063E0: 8652FF52 00FFFFFF
	s_cmp_lt_u32 s82, s66                                      // 0000000063E8: BF0A4252
	s_cselect_b32 s20, s36, s60                                // 0000000063EC: 85143C24
	v_readlane_b32 s82, v3, 3                                  // 0000000063F0: D2890052 00010703
	s_and_b32 s82, s82, 0xffffff                               // 0000000063F8: 8652FF52 00FFFFFF
	s_cmp_lt_u32 s82, s66                                      // 000000006400: BF0A4252
	s_cselect_b32 s21, s36, s60                                // 000000006404: 85153C24
	s_mov_b64 exec, s[20:21]                                   // 000000006408: BEFE0114
	buffer_store_dword v57, v6, s[8:11], 0 offen               // 00000000640C: E0701000 80023906
	s_mov_b64 exec, s[36:37]                                   // 000000006414: BEFE0124
	v_mov_b32_e32 v6, v46                                      // 000000006418: 7E0C032E
	s_mov_b64 s[60:61], 0                                      // 00000000641C: BEBC0180
	v_readlane_b32 s82, v3, 4                                  // 000000006420: D2890052 00010903
	s_and_b32 s82, s82, 0xffffff                               // 000000006428: 8652FF52 00FFFFFF
	s_cmp_lt_u32 s82, s66                                      // 000000006430: BF0A4252
	s_cselect_b32 s20, s36, s60                                // 000000006434: 85143C24
	v_readlane_b32 s82, v3, 5                                  // 000000006438: D2890052 00010B03
	s_and_b32 s82, s82, 0xffffff                               // 000000006440: 8652FF52 00FFFFFF
	s_cmp_lt_u32 s82, s66                                      // 000000006448: BF0A4252
	s_cselect_b32 s21, s36, s60                                // 00000000644C: 85153C24
	s_mov_b64 exec, s[20:21]                                   // 000000006450: BEFE0114
	buffer_store_dword v58, v6, s[8:11], 0 offen               // 000000006454: E0701000 80023A06
	s_mov_b64 exec, s[36:37]                                   // 00000000645C: BEFE0124
	v_mov_b32_e32 v6, v47                                      // 000000006460: 7E0C032F
	s_mov_b64 s[60:61], 0                                      // 000000006464: BEBC0180
	v_readlane_b32 s82, v3, 6                                  // 000000006468: D2890052 00010D03
	s_and_b32 s82, s82, 0xffffff                               // 000000006470: 8652FF52 00FFFFFF
	s_cmp_lt_u32 s82, s66                                      // 000000006478: BF0A4252
	s_cselect_b32 s20, s36, s60                                // 00000000647C: 85143C24
	v_readlane_b32 s82, v3, 7                                  // 000000006480: D2890052 00010F03
	s_and_b32 s82, s82, 0xffffff                               // 000000006488: 8652FF52 00FFFFFF
	s_cmp_lt_u32 s82, s66                                      // 000000006490: BF0A4252
	s_cselect_b32 s21, s36, s60                                // 000000006494: 85153C24
	s_mov_b64 exec, s[20:21]                                   // 000000006498: BEFE0114
	buffer_store_dword v59, v6, s[8:11], 0 offen               // 00000000649C: E0701000 80023B06
	s_mov_b64 exec, s[36:37]                                   // 0000000064A4: BEFE0124
	v_mov_b32_e32 v6, v48                                      // 0000000064A8: 7E0C0330
	s_mov_b64 s[60:61], 0                                      // 0000000064AC: BEBC0180
	v_readlane_b32 s82, v3, 8                                  // 0000000064B0: D2890052 00011103
	s_and_b32 s82, s82, 0xffffff                               // 0000000064B8: 8652FF52 00FFFFFF
	s_cmp_lt_u32 s82, s66                                      // 0000000064C0: BF0A4252
	s_cselect_b32 s20, s36, s60                                // 0000000064C4: 85143C24
	v_readlane_b32 s82, v3, 9                                  // 0000000064C8: D2890052 00011303
	s_and_b32 s82, s82, 0xffffff                               // 0000000064D0: 8652FF52 00FFFFFF
	s_cmp_lt_u32 s82, s66                                      // 0000000064D8: BF0A4252
	s_cselect_b32 s21, s36, s60                                // 0000000064DC: 85153C24
	s_mov_b64 exec, s[20:21]                                   // 0000000064E0: BEFE0114
	buffer_store_dword v60, v6, s[8:11], 0 offen               // 0000000064E4: E0701000 80023C06
	s_mov_b64 exec, s[36:37]                                   // 0000000064EC: BEFE0124
	v_mov_b32_e32 v6, v49                                      // 0000000064F0: 7E0C0331
	s_mov_b64 s[60:61], 0                                      // 0000000064F4: BEBC0180
	v_readlane_b32 s82, v3, 10                                 // 0000000064F8: D2890052 00011503
	s_and_b32 s82, s82, 0xffffff                               // 000000006500: 8652FF52 00FFFFFF
	s_cmp_lt_u32 s82, s66                                      // 000000006508: BF0A4252
	s_cselect_b32 s20, s36, s60                                // 00000000650C: 85143C24
	v_readlane_b32 s82, v3, 11                                 // 000000006510: D2890052 00011703
	s_and_b32 s82, s82, 0xffffff                               // 000000006518: 8652FF52 00FFFFFF
	s_cmp_lt_u32 s82, s66                                      // 000000006520: BF0A4252
	s_cselect_b32 s21, s36, s60                                // 000000006524: 85153C24
	s_mov_b64 exec, s[20:21]                                   // 000000006528: BEFE0114
	buffer_store_dword v61, v6, s[8:11], 0 offen               // 00000000652C: E0701000 80023D06
	s_mov_b64 exec, s[36:37]                                   // 000000006534: BEFE0124
	v_mov_b32_e32 v6, v50                                      // 000000006538: 7E0C0332
	s_mov_b64 s[60:61], 0                                      // 00000000653C: BEBC0180
	v_readlane_b32 s82, v3, 12                                 // 000000006540: D2890052 00011903
	s_and_b32 s82, s82, 0xffffff                               // 000000006548: 8652FF52 00FFFFFF
	s_cmp_lt_u32 s82, s66                                      // 000000006550: BF0A4252
	s_cselect_b32 s20, s36, s60                                // 000000006554: 85143C24
	v_readlane_b32 s82, v3, 13                                 // 000000006558: D2890052 00011B03
	s_and_b32 s82, s82, 0xffffff                               // 000000006560: 8652FF52 00FFFFFF
	s_cmp_lt_u32 s82, s66                                      // 000000006568: BF0A4252
	s_cselect_b32 s21, s36, s60                                // 00000000656C: 85153C24
	s_mov_b64 exec, s[20:21]                                   // 000000006570: BEFE0114
	buffer_store_dword v62, v6, s[8:11], 0 offen               // 000000006574: E0701000 80023E06
	s_mov_b64 exec, s[36:37]                                   // 00000000657C: BEFE0124
	v_mov_b32_e32 v6, v51                                      // 000000006580: 7E0C0333
	s_mov_b64 s[60:61], 0                                      // 000000006584: BEBC0180
	v_readlane_b32 s82, v3, 14                                 // 000000006588: D2890052 00011D03
	s_and_b32 s82, s82, 0xffffff                               // 000000006590: 8652FF52 00FFFFFF
	s_cmp_lt_u32 s82, s66                                      // 000000006598: BF0A4252
	s_cselect_b32 s20, s36, s60                                // 00000000659C: 85143C24
	v_readlane_b32 s82, v3, 15                                 // 0000000065A0: D2890052 00011F03
	s_and_b32 s82, s82, 0xffffff                               // 0000000065A8: 8652FF52 00FFFFFF
	s_cmp_lt_u32 s82, s66                                      // 0000000065B0: BF0A4252
	s_cselect_b32 s21, s36, s60                                // 0000000065B4: 85153C24
	s_mov_b64 exec, s[20:21]                                   // 0000000065B8: BEFE0114
	buffer_store_dword v63, v6, s[8:11], 0 offen               // 0000000065BC: E0701000 80023F06
	s_mov_b64 exec, s[36:37]                                   // 0000000065C4: BEFE0124
	s_branch label_1270                                        // 0000000065C8: BF82037A

00000000000065cc <label_0EF6>:
	ds_write_b64 v20, v[56:57]                                 // 0000000065CC: D89A0000 00003814
	ds_write_b64 v20, v[60:61] offset:2176                     // 0000000065D4: D89A0880 00003C14
	ds_write_b64 v20, v[64:65] offset:4352                     // 0000000065DC: D89A1100 00004014
	ds_write_b64 v20, v[68:69] offset:6528                     // 0000000065E4: D89A1980 00004414
	v_lshrrev_b32_e32 v4, 5, v0                                // 0000000065EC: 20080085
	v_xor_b32_e32 v5, 1, v4                                    // 0000000065F0: 2A0A0881
	s_mul_i32 s60, s65, 2                                      // 0000000065F4: 923C8241
	s_cmp_eq_u32 s88, 0                                        // 0000000065F8: BF068058
	s_cselect_b32 s61, 1, 4                                    // 0000000065FC: 853D8481
	s_mul_i32 s60, s61, s60                                    // 000000006600: 923C3C3D
	v_readlane_b32 s82, v3, 0                                  // 000000006604: D2890052 00010103
	s_lshr_b32 s61, s82, 24                                    // 00000000660C: 8F3D9852
	s_and_b32 s82, s82, 0xffffff                               // 000000006610: 8652FF52 00FFFFFF
	s_mul_i32 s82, s82, s71                                    // 000000006618: 92524752
	s_mul_i32 s61, s60, s61                                    // 00000000661C: 923D3D3C
	s_add_u32 s82, s82, s61                                    // 000000006620: 80523D52
	v_mul_lo_u32 v6, v5, s82                                   // 000000006624: D2850006 0000A505
	v_readlane_b32 s82, v3, 1                                  // 00000000662C: D2890052 00010303
	s_lshr_b32 s61, s82, 24                                    // 000000006634: 8F3D9852
	s_and_b32 s82, s82, 0xffffff                               // 000000006638: 8652FF52 00FFFFFF
	s_mul_i32 s82, s82, s71                                    // 000000006640: 92524752
	s_mul_i32 s61, s60, s61                                    // 000000006644: 923D3D3C
	s_add_u32 s82, s82, s61                                    // 000000006648: 80523D52
	v_mul_lo_u32 v7, v4, s82                                   // 00000000664C: D2850007 0000A504
	v_add_u32_e32 v44, v6, v7                                  // 000000006654: 68580F06
	v_readlane_b32 s82, v3, 2                                  // 000000006658: D2890052 00010503
	s_lshr_b32 s61, s82, 24                                    // 000000006660: 8F3D9852
	s_and_b32 s82, s82, 0xffffff                               // 000000006664: 8652FF52 00FFFFFF
	s_mul_i32 s82, s82, s71                                    // 00000000666C: 92524752
	s_mul_i32 s61, s60, s61                                    // 000000006670: 923D3D3C
	s_add_u32 s82, s82, s61                                    // 000000006674: 80523D52
	v_mul_lo_u32 v6, v5, s82                                   // 000000006678: D2850006 0000A505
	v_readlane_b32 s82, v3, 3                                  // 000000006680: D2890052 00010703
	s_lshr_b32 s61, s82, 24                                    // 000000006688: 8F3D9852
	s_and_b32 s82, s82, 0xffffff                               // 00000000668C: 8652FF52 00FFFFFF
	s_mul_i32 s82, s82, s71                                    // 000000006694: 92524752
	s_mul_i32 s61, s60, s61                                    // 000000006698: 923D3D3C
	s_add_u32 s82, s82, s61                                    // 00000000669C: 80523D52
	v_mul_lo_u32 v7, v4, s82                                   // 0000000066A0: D2850007 0000A504
	v_add_u32_e32 v45, v6, v7                                  // 0000000066A8: 685A0F06
	v_readlane_b32 s82, v3, 4                                  // 0000000066AC: D2890052 00010903
	s_lshr_b32 s61, s82, 24                                    // 0000000066B4: 8F3D9852
	s_and_b32 s82, s82, 0xffffff                               // 0000000066B8: 8652FF52 00FFFFFF
	s_mul_i32 s82, s82, s71                                    // 0000000066C0: 92524752
	s_mul_i32 s61, s60, s61                                    // 0000000066C4: 923D3D3C
	s_add_u32 s82, s82, s61                                    // 0000000066C8: 80523D52
	v_mul_lo_u32 v6, v5, s82                                   // 0000000066CC: D2850006 0000A505
	v_readlane_b32 s82, v3, 5                                  // 0000000066D4: D2890052 00010B03
	s_lshr_b32 s61, s82, 24                                    // 0000000066DC: 8F3D9852
	s_and_b32 s82, s82, 0xffffff                               // 0000000066E0: 8652FF52 00FFFFFF
	s_mul_i32 s82, s82, s71                                    // 0000000066E8: 92524752
	s_mul_i32 s61, s60, s61                                    // 0000000066EC: 923D3D3C
	s_add_u32 s82, s82, s61                                    // 0000000066F0: 80523D52
	v_mul_lo_u32 v7, v4, s82                                   // 0000000066F4: D2850007 0000A504
	v_add_u32_e32 v46, v6, v7                                  // 0000000066FC: 685C0F06
	v_readlane_b32 s82, v3, 6                                  // 000000006700: D2890052 00010D03
	s_lshr_b32 s61, s82, 24                                    // 000000006708: 8F3D9852
	s_and_b32 s82, s82, 0xffffff                               // 00000000670C: 8652FF52 00FFFFFF
	s_mul_i32 s82, s82, s71                                    // 000000006714: 92524752
	s_mul_i32 s61, s60, s61                                    // 000000006718: 923D3D3C
	s_add_u32 s82, s82, s61                                    // 00000000671C: 80523D52
	v_mul_lo_u32 v6, v5, s82                                   // 000000006720: D2850006 0000A505
	v_readlane_b32 s82, v3, 7                                  // 000000006728: D2890052 00010F03
	s_lshr_b32 s61, s82, 24                                    // 000000006730: 8F3D9852
	s_and_b32 s82, s82, 0xffffff                               // 000000006734: 8652FF52 00FFFFFF
	s_mul_i32 s82, s82, s71                                    // 00000000673C: 92524752
	s_mul_i32 s61, s60, s61                                    // 000000006740: 923D3D3C
	s_add_u32 s82, s82, s61                                    // 000000006744: 80523D52
	v_mul_lo_u32 v7, v4, s82                                   // 000000006748: D2850007 0000A504
	v_add_u32_e32 v47, v6, v7                                  // 000000006750: 685E0F06
	v_readlane_b32 s82, v3, 8                                  // 000000006754: D2890052 00011103
	s_lshr_b32 s61, s82, 24                                    // 00000000675C: 8F3D9852
	s_and_b32 s82, s82, 0xffffff                               // 000000006760: 8652FF52 00FFFFFF
	s_mul_i32 s82, s82, s71                                    // 000000006768: 92524752
	s_mul_i32 s61, s60, s61                                    // 00000000676C: 923D3D3C
	s_add_u32 s82, s82, s61                                    // 000000006770: 80523D52
	v_mul_lo_u32 v6, v5, s82                                   // 000000006774: D2850006 0000A505
	v_readlane_b32 s82, v3, 9                                  // 00000000677C: D2890052 00011303
	s_lshr_b32 s61, s82, 24                                    // 000000006784: 8F3D9852
	s_and_b32 s82, s82, 0xffffff                               // 000000006788: 8652FF52 00FFFFFF
	s_mul_i32 s82, s82, s71                                    // 000000006790: 92524752
	s_mul_i32 s61, s60, s61                                    // 000000006794: 923D3D3C
	s_add_u32 s82, s82, s61                                    // 000000006798: 80523D52
	v_mul_lo_u32 v7, v4, s82                                   // 00000000679C: D2850007 0000A504
	v_add_u32_e32 v48, v6, v7                                  // 0000000067A4: 68600F06
	v_readlane_b32 s82, v3, 10                                 // 0000000067A8: D2890052 00011503
	s_lshr_b32 s61, s82, 24                                    // 0000000067B0: 8F3D9852
	s_and_b32 s82, s82, 0xffffff                               // 0000000067B4: 8652FF52 00FFFFFF
	s_mul_i32 s82, s82, s71                                    // 0000000067BC: 92524752
	s_mul_i32 s61, s60, s61                                    // 0000000067C0: 923D3D3C
	s_add_u32 s82, s82, s61                                    // 0000000067C4: 80523D52
	v_mul_lo_u32 v6, v5, s82                                   // 0000000067C8: D2850006 0000A505
	v_readlane_b32 s82, v3, 11                                 // 0000000067D0: D2890052 00011703
	s_lshr_b32 s61, s82, 24                                    // 0000000067D8: 8F3D9852
	s_and_b32 s82, s82, 0xffffff                               // 0000000067DC: 8652FF52 00FFFFFF
	s_mul_i32 s82, s82, s71                                    // 0000000067E4: 92524752
	s_mul_i32 s61, s60, s61                                    // 0000000067E8: 923D3D3C
	s_add_u32 s82, s82, s61                                    // 0000000067EC: 80523D52
	v_mul_lo_u32 v7, v4, s82                                   // 0000000067F0: D2850007 0000A504
	v_add_u32_e32 v49, v6, v7                                  // 0000000067F8: 68620F06
	v_readlane_b32 s82, v3, 12                                 // 0000000067FC: D2890052 00011903
	s_lshr_b32 s61, s82, 24                                    // 000000006804: 8F3D9852
	s_and_b32 s82, s82, 0xffffff                               // 000000006808: 8652FF52 00FFFFFF
	s_mul_i32 s82, s82, s71                                    // 000000006810: 92524752
	s_mul_i32 s61, s60, s61                                    // 000000006814: 923D3D3C
	s_add_u32 s82, s82, s61                                    // 000000006818: 80523D52
	v_mul_lo_u32 v6, v5, s82                                   // 00000000681C: D2850006 0000A505
	v_readlane_b32 s82, v3, 13                                 // 000000006824: D2890052 00011B03
	s_lshr_b32 s61, s82, 24                                    // 00000000682C: 8F3D9852
	s_and_b32 s82, s82, 0xffffff                               // 000000006830: 8652FF52 00FFFFFF
	s_mul_i32 s82, s82, s71                                    // 000000006838: 92524752
	s_mul_i32 s61, s60, s61                                    // 00000000683C: 923D3D3C
	s_add_u32 s82, s82, s61                                    // 000000006840: 80523D52
	v_mul_lo_u32 v7, v4, s82                                   // 000000006844: D2850007 0000A504
	v_add_u32_e32 v50, v6, v7                                  // 00000000684C: 68640F06
	v_readlane_b32 s82, v3, 14                                 // 000000006850: D2890052 00011D03
	s_lshr_b32 s61, s82, 24                                    // 000000006858: 8F3D9852
	s_and_b32 s82, s82, 0xffffff                               // 00000000685C: 8652FF52 00FFFFFF
	s_mul_i32 s82, s82, s71                                    // 000000006864: 92524752
	s_mul_i32 s61, s60, s61                                    // 000000006868: 923D3D3C
	s_add_u32 s82, s82, s61                                    // 00000000686C: 80523D52
	v_mul_lo_u32 v6, v5, s82                                   // 000000006870: D2850006 0000A505
	v_readlane_b32 s82, v3, 15                                 // 000000006878: D2890052 00011F03
	s_lshr_b32 s61, s82, 24                                    // 000000006880: 8F3D9852
	s_and_b32 s82, s82, 0xffffff                               // 000000006884: 8652FF52 00FFFFFF
	s_mul_i32 s82, s82, s71                                    // 00000000688C: 92524752
	s_mul_i32 s61, s60, s61                                    // 000000006890: 923D3D3C
	s_add_u32 s82, s82, s61                                    // 000000006894: 80523D52
	v_mul_lo_u32 v7, v4, s82                                   // 000000006898: D2850007 0000A504
	v_add_u32_e32 v51, v6, v7                                  // 0000000068A0: 68660F06
	v_and_b32_e32 v4, 31, v0                                   // 0000000068A4: 2608009F
	v_lshrrev_b32_e32 v4, 1, v4                                // 0000000068A8: 20080881
	s_cmp_eq_u32 s88, 0                                        // 0000000068AC: BF068058
	s_cselect_b32 s61, 2, 4                                    // 0000000068B0: 853D8482
	v_mul_lo_u32 v4, v4, s61                                   // 0000000068B4: D2850004 00007B04
	v_and_b32_e64 v5, v0, 1                                    // 0000000068BC: D1130005 00010300
	v_add_u32_e32 v4, v4, v5                                   // 0000000068C4: 68080B04
	v_lshlrev_b32_e32 v4, 2, v4                                // 0000000068C8: 24080882
	v_add_u32_e32 v44, v44, v4                                 // 0000000068CC: 6858092C
	v_add_u32_e32 v45, v45, v4                                 // 0000000068D0: 685A092D
	v_add_u32_e32 v46, v46, v4                                 // 0000000068D4: 685C092E
	v_add_u32_e32 v47, v47, v4                                 // 0000000068D8: 685E092F
	v_add_u32_e32 v48, v48, v4                                 // 0000000068DC: 68600930
	v_add_u32_e32 v49, v49, v4                                 // 0000000068E0: 68620931
	v_add_u32_e32 v50, v50, v4                                 // 0000000068E4: 68640932
	v_add_u32_e32 v51, v51, v4                                 // 0000000068E8: 68660933
	s_waitcnt lgkmcnt(0)                                       // 0000000068EC: BF8CC07F
	s_barrier                                                  // 0000000068F0: BF8A0000
	ds_read_b32 v56, v21                                       // 0000000068F4: D86C0000 38000015
	ds_read_b32 v57, v21 offset:64                             // 0000000068FC: D86C0040 39000015
	ds_read_b32 v60, v21 offset:2176                           // 000000006904: D86C0880 3C000015
	ds_read_b32 v61, v21 offset:2240                           // 00000000690C: D86C08C0 3D000015
	ds_read_b32 v64, v21 offset:4352                           // 000000006914: D86C1100 40000015
	ds_read_b32 v65, v21 offset:4416                           // 00000000691C: D86C1140 41000015
	ds_read_b32 v68, v21 offset:6528                           // 000000006924: D86C1980 44000015
	ds_read_b32 v69, v21 offset:6592                           // 00000000692C: D86C19C0 45000015
	s_waitcnt lgkmcnt(0)                                       // 000000006934: BF8CC07F
	s_mov_b32 s36, -1                                          // 000000006938: BEA400C1
	s_mov_b32 s37, -1                                          // 00000000693C: BEA500C1
	v_mov_b32_e32 v7, 0                                        // 000000006940: 7E0E0280
	s_mov_b64 exec, s[36:37]                                   // 000000006944: BEFE0124
	v_mov_b32_e32 v6, v44                                      // 000000006948: 7E0C032C
	s_mov_b64 s[60:61], 0                                      // 00000000694C: BEBC0180
	v_readlane_b32 s82, v3, 0                                  // 000000006950: D2890052 00010103
	s_and_b32 s82, s82, 0xffffff                               // 000000006958: 8652FF52 00FFFFFF
	s_cmp_lt_u32 s82, s66                                      // 000000006960: BF0A4252
	s_cselect_b32 s20, s36, s60                                // 000000006964: 85143C24
	v_readlane_b32 s82, v3, 1                                  // 000000006968: D2890052 00010303
	s_and_b32 s82, s82, 0xffffff                               // 000000006970: 8652FF52 00FFFFFF
	s_cmp_lt_u32 s82, s66                                      // 000000006978: BF0A4252
	s_cselect_b32 s21, s36, s60                                // 00000000697C: 85153C24
	s_mov_b64 exec, s[20:21]                                   // 000000006980: BEFE0114
	global_atomic_add_f32 v6, v56, s[8:9]                      // 000000006984: DD348000 00083806
	s_mov_b64 exec, s[36:37]                                   // 00000000698C: BEFE0124
	v_mov_b32_e32 v6, v45                                      // 000000006990: 7E0C032D
	s_mov_b64 s[60:61], 0                                      // 000000006994: BEBC0180
	v_readlane_b32 s82, v3, 2                                  // 000000006998: D2890052 00010503
	s_and_b32 s82, s82, 0xffffff                               // 0000000069A0: 8652FF52 00FFFFFF
	s_cmp_lt_u32 s82, s66                                      // 0000000069A8: BF0A4252
	s_cselect_b32 s20, s36, s60                                // 0000000069AC: 85143C24
	v_readlane_b32 s82, v3, 3                                  // 0000000069B0: D2890052 00010703
	s_and_b32 s82, s82, 0xffffff                               // 0000000069B8: 8652FF52 00FFFFFF
	s_cmp_lt_u32 s82, s66                                      // 0000000069C0: BF0A4252
	s_cselect_b32 s21, s36, s60                                // 0000000069C4: 85153C24
	s_mov_b64 exec, s[20:21]                                   // 0000000069C8: BEFE0114
	global_atomic_add_f32 v6, v57, s[8:9]                      // 0000000069CC: DD348000 00083906
	s_mov_b64 exec, s[36:37]                                   // 0000000069D4: BEFE0124
	v_mov_b32_e32 v6, v46                                      // 0000000069D8: 7E0C032E
	s_mov_b64 s[60:61], 0                                      // 0000000069DC: BEBC0180
	v_readlane_b32 s82, v3, 4                                  // 0000000069E0: D2890052 00010903
	s_and_b32 s82, s82, 0xffffff                               // 0000000069E8: 8652FF52 00FFFFFF
	s_cmp_lt_u32 s82, s66                                      // 0000000069F0: BF0A4252
	s_cselect_b32 s20, s36, s60                                // 0000000069F4: 85143C24
	v_readlane_b32 s82, v3, 5                                  // 0000000069F8: D2890052 00010B03
	s_and_b32 s82, s82, 0xffffff                               // 000000006A00: 8652FF52 00FFFFFF
	s_cmp_lt_u32 s82, s66                                      // 000000006A08: BF0A4252
	s_cselect_b32 s21, s36, s60                                // 000000006A0C: 85153C24
	s_mov_b64 exec, s[20:21]                                   // 000000006A10: BEFE0114
	global_atomic_add_f32 v6, v60, s[8:9]                      // 000000006A14: DD348000 00083C06
	s_mov_b64 exec, s[36:37]                                   // 000000006A1C: BEFE0124
	v_mov_b32_e32 v6, v47                                      // 000000006A20: 7E0C032F
	s_mov_b64 s[60:61], 0                                      // 000000006A24: BEBC0180
	v_readlane_b32 s82, v3, 6                                  // 000000006A28: D2890052 00010D03
	s_and_b32 s82, s82, 0xffffff                               // 000000006A30: 8652FF52 00FFFFFF
	s_cmp_lt_u32 s82, s66                                      // 000000006A38: BF0A4252
	s_cselect_b32 s20, s36, s60                                // 000000006A3C: 85143C24
	v_readlane_b32 s82, v3, 7                                  // 000000006A40: D2890052 00010F03
	s_and_b32 s82, s82, 0xffffff                               // 000000006A48: 8652FF52 00FFFFFF
	s_cmp_lt_u32 s82, s66                                      // 000000006A50: BF0A4252
	s_cselect_b32 s21, s36, s60                                // 000000006A54: 85153C24
	s_mov_b64 exec, s[20:21]                                   // 000000006A58: BEFE0114
	global_atomic_add_f32 v6, v61, s[8:9]                      // 000000006A5C: DD348000 00083D06
	s_mov_b64 exec, s[36:37]                                   // 000000006A64: BEFE0124
	v_mov_b32_e32 v6, v48                                      // 000000006A68: 7E0C0330
	s_mov_b64 s[60:61], 0                                      // 000000006A6C: BEBC0180
	v_readlane_b32 s82, v3, 8                                  // 000000006A70: D2890052 00011103
	s_and_b32 s82, s82, 0xffffff                               // 000000006A78: 8652FF52 00FFFFFF
	s_cmp_lt_u32 s82, s66                                      // 000000006A80: BF0A4252
	s_cselect_b32 s20, s36, s60                                // 000000006A84: 85143C24
	v_readlane_b32 s82, v3, 9                                  // 000000006A88: D2890052 00011303
	s_and_b32 s82, s82, 0xffffff                               // 000000006A90: 8652FF52 00FFFFFF
	s_cmp_lt_u32 s82, s66                                      // 000000006A98: BF0A4252
	s_cselect_b32 s21, s36, s60                                // 000000006A9C: 85153C24
	s_mov_b64 exec, s[20:21]                                   // 000000006AA0: BEFE0114
	global_atomic_add_f32 v6, v64, s[8:9]                      // 000000006AA4: DD348000 00084006
	s_mov_b64 exec, s[36:37]                                   // 000000006AAC: BEFE0124
	v_mov_b32_e32 v6, v49                                      // 000000006AB0: 7E0C0331
	s_mov_b64 s[60:61], 0                                      // 000000006AB4: BEBC0180
	v_readlane_b32 s82, v3, 10                                 // 000000006AB8: D2890052 00011503
	s_and_b32 s82, s82, 0xffffff                               // 000000006AC0: 8652FF52 00FFFFFF
	s_cmp_lt_u32 s82, s66                                      // 000000006AC8: BF0A4252
	s_cselect_b32 s20, s36, s60                                // 000000006ACC: 85143C24
	v_readlane_b32 s82, v3, 11                                 // 000000006AD0: D2890052 00011703
	s_and_b32 s82, s82, 0xffffff                               // 000000006AD8: 8652FF52 00FFFFFF
	s_cmp_lt_u32 s82, s66                                      // 000000006AE0: BF0A4252
	s_cselect_b32 s21, s36, s60                                // 000000006AE4: 85153C24
	s_mov_b64 exec, s[20:21]                                   // 000000006AE8: BEFE0114
	global_atomic_add_f32 v6, v65, s[8:9]                      // 000000006AEC: DD348000 00084106
	s_mov_b64 exec, s[36:37]                                   // 000000006AF4: BEFE0124
	v_mov_b32_e32 v6, v50                                      // 000000006AF8: 7E0C0332
	s_mov_b64 s[60:61], 0                                      // 000000006AFC: BEBC0180
	v_readlane_b32 s82, v3, 12                                 // 000000006B00: D2890052 00011903
	s_and_b32 s82, s82, 0xffffff                               // 000000006B08: 8652FF52 00FFFFFF
	s_cmp_lt_u32 s82, s66                                      // 000000006B10: BF0A4252
	s_cselect_b32 s20, s36, s60                                // 000000006B14: 85143C24
	v_readlane_b32 s82, v3, 13                                 // 000000006B18: D2890052 00011B03
	s_and_b32 s82, s82, 0xffffff                               // 000000006B20: 8652FF52 00FFFFFF
	s_cmp_lt_u32 s82, s66                                      // 000000006B28: BF0A4252
	s_cselect_b32 s21, s36, s60                                // 000000006B2C: 85153C24
	s_mov_b64 exec, s[20:21]                                   // 000000006B30: BEFE0114
	global_atomic_add_f32 v6, v68, s[8:9]                      // 000000006B34: DD348000 00084406
	s_mov_b64 exec, s[36:37]                                   // 000000006B3C: BEFE0124
	v_mov_b32_e32 v6, v51                                      // 000000006B40: 7E0C0333
	s_mov_b64 s[60:61], 0                                      // 000000006B44: BEBC0180
	v_readlane_b32 s82, v3, 14                                 // 000000006B48: D2890052 00011D03
	s_and_b32 s82, s82, 0xffffff                               // 000000006B50: 8652FF52 00FFFFFF
	s_cmp_lt_u32 s82, s66                                      // 000000006B58: BF0A4252
	s_cselect_b32 s20, s36, s60                                // 000000006B5C: 85143C24
	v_readlane_b32 s82, v3, 15                                 // 000000006B60: D2890052 00011F03
	s_and_b32 s82, s82, 0xffffff                               // 000000006B68: 8652FF52 00FFFFFF
	s_cmp_lt_u32 s82, s66                                      // 000000006B70: BF0A4252
	s_cselect_b32 s21, s36, s60                                // 000000006B74: 85153C24
	s_mov_b64 exec, s[20:21]                                   // 000000006B78: BEFE0114
	global_atomic_add_f32 v6, v69, s[8:9]                      // 000000006B7C: DD348000 00084506
	s_mov_b64 exec, s[36:37]                                   // 000000006B84: BEFE0124
	ds_write_b64 v20, v[58:59]                                 // 000000006B88: D89A0000 00003A14
	ds_write_b64 v20, v[62:63] offset:2176                     // 000000006B90: D89A0880 00003E14
	ds_write_b64 v20, v[66:67] offset:4352                     // 000000006B98: D89A1100 00004214
	ds_write_b64 v20, v[70:71] offset:6528                     // 000000006BA0: D89A1980 00004614
	s_waitcnt lgkmcnt(0)                                       // 000000006BA8: BF8CC07F
	s_barrier                                                  // 000000006BAC: BF8A0000
	ds_read_b32 v58, v21                                       // 000000006BB0: D86C0000 3A000015
	ds_read_b32 v59, v21 offset:64                             // 000000006BB8: D86C0040 3B000015
	ds_read_b32 v62, v21 offset:2176                           // 000000006BC0: D86C0880 3E000015
	ds_read_b32 v63, v21 offset:2240                           // 000000006BC8: D86C08C0 3F000015
	ds_read_b32 v66, v21 offset:4352                           // 000000006BD0: D86C1100 42000015
	ds_read_b32 v67, v21 offset:4416                           // 000000006BD8: D86C1140 43000015
	ds_read_b32 v70, v21 offset:6528                           // 000000006BE0: D86C1980 46000015
	ds_read_b32 v71, v21 offset:6592                           // 000000006BE8: D86C19C0 47000015
	s_waitcnt lgkmcnt(0)                                       // 000000006BF0: BF8CC07F
	v_mov_b32_e32 v7, 0                                        // 000000006BF4: 7E0E0280
	s_mov_b64 exec, s[36:37]                                   // 000000006BF8: BEFE0124
	v_mov_b32_e32 v6, v44                                      // 000000006BFC: 7E0C032C
	s_mov_b64 s[60:61], 0                                      // 000000006C00: BEBC0180
	v_readlane_b32 s82, v3, 0                                  // 000000006C04: D2890052 00010103
	s_and_b32 s82, s82, 0xffffff                               // 000000006C0C: 8652FF52 00FFFFFF
	s_cmp_lt_u32 s82, s66                                      // 000000006C14: BF0A4252
	s_cselect_b32 s20, s36, s60                                // 000000006C18: 85143C24
	v_readlane_b32 s82, v3, 1                                  // 000000006C1C: D2890052 00010303
	s_and_b32 s82, s82, 0xffffff                               // 000000006C24: 8652FF52 00FFFFFF
	s_cmp_lt_u32 s82, s66                                      // 000000006C2C: BF0A4252
	s_cselect_b32 s21, s36, s60                                // 000000006C30: 85153C24
	s_mov_b64 exec, s[20:21]                                   // 000000006C34: BEFE0114
	global_atomic_add_f32 v6, v58, s[8:9] offset:8             // 000000006C38: DD348008 00083A06
	s_mov_b64 exec, s[36:37]                                   // 000000006C40: BEFE0124
	v_mov_b32_e32 v6, v45                                      // 000000006C44: 7E0C032D
	s_mov_b64 s[60:61], 0                                      // 000000006C48: BEBC0180
	v_readlane_b32 s82, v3, 2                                  // 000000006C4C: D2890052 00010503
	s_and_b32 s82, s82, 0xffffff                               // 000000006C54: 8652FF52 00FFFFFF
	s_cmp_lt_u32 s82, s66                                      // 000000006C5C: BF0A4252
	s_cselect_b32 s20, s36, s60                                // 000000006C60: 85143C24
	v_readlane_b32 s82, v3, 3                                  // 000000006C64: D2890052 00010703
	s_and_b32 s82, s82, 0xffffff                               // 000000006C6C: 8652FF52 00FFFFFF
	s_cmp_lt_u32 s82, s66                                      // 000000006C74: BF0A4252
	s_cselect_b32 s21, s36, s60                                // 000000006C78: 85153C24
	s_mov_b64 exec, s[20:21]                                   // 000000006C7C: BEFE0114
	global_atomic_add_f32 v6, v59, s[8:9] offset:8             // 000000006C80: DD348008 00083B06
	s_mov_b64 exec, s[36:37]                                   // 000000006C88: BEFE0124
	v_mov_b32_e32 v6, v46                                      // 000000006C8C: 7E0C032E
	s_mov_b64 s[60:61], 0                                      // 000000006C90: BEBC0180
	v_readlane_b32 s82, v3, 4                                  // 000000006C94: D2890052 00010903
	s_and_b32 s82, s82, 0xffffff                               // 000000006C9C: 8652FF52 00FFFFFF
	s_cmp_lt_u32 s82, s66                                      // 000000006CA4: BF0A4252
	s_cselect_b32 s20, s36, s60                                // 000000006CA8: 85143C24
	v_readlane_b32 s82, v3, 5                                  // 000000006CAC: D2890052 00010B03
	s_and_b32 s82, s82, 0xffffff                               // 000000006CB4: 8652FF52 00FFFFFF
	s_cmp_lt_u32 s82, s66                                      // 000000006CBC: BF0A4252
	s_cselect_b32 s21, s36, s60                                // 000000006CC0: 85153C24
	s_mov_b64 exec, s[20:21]                                   // 000000006CC4: BEFE0114
	global_atomic_add_f32 v6, v62, s[8:9] offset:8             // 000000006CC8: DD348008 00083E06
	s_mov_b64 exec, s[36:37]                                   // 000000006CD0: BEFE0124
	v_mov_b32_e32 v6, v47                                      // 000000006CD4: 7E0C032F
	s_mov_b64 s[60:61], 0                                      // 000000006CD8: BEBC0180
	v_readlane_b32 s82, v3, 6                                  // 000000006CDC: D2890052 00010D03
	s_and_b32 s82, s82, 0xffffff                               // 000000006CE4: 8652FF52 00FFFFFF
	s_cmp_lt_u32 s82, s66                                      // 000000006CEC: BF0A4252
	s_cselect_b32 s20, s36, s60                                // 000000006CF0: 85143C24
	v_readlane_b32 s82, v3, 7                                  // 000000006CF4: D2890052 00010F03
	s_and_b32 s82, s82, 0xffffff                               // 000000006CFC: 8652FF52 00FFFFFF
	s_cmp_lt_u32 s82, s66                                      // 000000006D04: BF0A4252
	s_cselect_b32 s21, s36, s60                                // 000000006D08: 85153C24
	s_mov_b64 exec, s[20:21]                                   // 000000006D0C: BEFE0114
	global_atomic_add_f32 v6, v63, s[8:9] offset:8             // 000000006D10: DD348008 00083F06
	s_mov_b64 exec, s[36:37]                                   // 000000006D18: BEFE0124
	v_mov_b32_e32 v6, v48                                      // 000000006D1C: 7E0C0330
	s_mov_b64 s[60:61], 0                                      // 000000006D20: BEBC0180
	v_readlane_b32 s82, v3, 8                                  // 000000006D24: D2890052 00011103
	s_and_b32 s82, s82, 0xffffff                               // 000000006D2C: 8652FF52 00FFFFFF
	s_cmp_lt_u32 s82, s66                                      // 000000006D34: BF0A4252
	s_cselect_b32 s20, s36, s60                                // 000000006D38: 85143C24
	v_readlane_b32 s82, v3, 9                                  // 000000006D3C: D2890052 00011303
	s_and_b32 s82, s82, 0xffffff                               // 000000006D44: 8652FF52 00FFFFFF
	s_cmp_lt_u32 s82, s66                                      // 000000006D4C: BF0A4252
	s_cselect_b32 s21, s36, s60                                // 000000006D50: 85153C24
	s_mov_b64 exec, s[20:21]                                   // 000000006D54: BEFE0114
	global_atomic_add_f32 v6, v66, s[8:9] offset:8             // 000000006D58: DD348008 00084206
	s_mov_b64 exec, s[36:37]                                   // 000000006D60: BEFE0124
	v_mov_b32_e32 v6, v49                                      // 000000006D64: 7E0C0331
	s_mov_b64 s[60:61], 0                                      // 000000006D68: BEBC0180
	v_readlane_b32 s82, v3, 10                                 // 000000006D6C: D2890052 00011503
	s_and_b32 s82, s82, 0xffffff                               // 000000006D74: 8652FF52 00FFFFFF
	s_cmp_lt_u32 s82, s66                                      // 000000006D7C: BF0A4252
	s_cselect_b32 s20, s36, s60                                // 000000006D80: 85143C24
	v_readlane_b32 s82, v3, 11                                 // 000000006D84: D2890052 00011703
	s_and_b32 s82, s82, 0xffffff                               // 000000006D8C: 8652FF52 00FFFFFF
	s_cmp_lt_u32 s82, s66                                      // 000000006D94: BF0A4252
	s_cselect_b32 s21, s36, s60                                // 000000006D98: 85153C24
	s_mov_b64 exec, s[20:21]                                   // 000000006D9C: BEFE0114
	global_atomic_add_f32 v6, v67, s[8:9] offset:8             // 000000006DA0: DD348008 00084306
	s_mov_b64 exec, s[36:37]                                   // 000000006DA8: BEFE0124
	v_mov_b32_e32 v6, v50                                      // 000000006DAC: 7E0C0332
	s_mov_b64 s[60:61], 0                                      // 000000006DB0: BEBC0180
	v_readlane_b32 s82, v3, 12                                 // 000000006DB4: D2890052 00011903
	s_and_b32 s82, s82, 0xffffff                               // 000000006DBC: 8652FF52 00FFFFFF
	s_cmp_lt_u32 s82, s66                                      // 000000006DC4: BF0A4252
	s_cselect_b32 s20, s36, s60                                // 000000006DC8: 85143C24
	v_readlane_b32 s82, v3, 13                                 // 000000006DCC: D2890052 00011B03
	s_and_b32 s82, s82, 0xffffff                               // 000000006DD4: 8652FF52 00FFFFFF
	s_cmp_lt_u32 s82, s66                                      // 000000006DDC: BF0A4252
	s_cselect_b32 s21, s36, s60                                // 000000006DE0: 85153C24
	s_mov_b64 exec, s[20:21]                                   // 000000006DE4: BEFE0114
	global_atomic_add_f32 v6, v70, s[8:9] offset:8             // 000000006DE8: DD348008 00084606
	s_mov_b64 exec, s[36:37]                                   // 000000006DF0: BEFE0124
	v_mov_b32_e32 v6, v51                                      // 000000006DF4: 7E0C0333
	s_mov_b64 s[60:61], 0                                      // 000000006DF8: BEBC0180
	v_readlane_b32 s82, v3, 14                                 // 000000006DFC: D2890052 00011D03
	s_and_b32 s82, s82, 0xffffff                               // 000000006E04: 8652FF52 00FFFFFF
	s_cmp_lt_u32 s82, s66                                      // 000000006E0C: BF0A4252
	s_cselect_b32 s20, s36, s60                                // 000000006E10: 85143C24
	v_readlane_b32 s82, v3, 15                                 // 000000006E14: D2890052 00011F03
	s_and_b32 s82, s82, 0xffffff                               // 000000006E1C: 8652FF52 00FFFFFF
	s_cmp_lt_u32 s82, s66                                      // 000000006E24: BF0A4252
	s_cselect_b32 s21, s36, s60                                // 000000006E28: 85153C24
	s_mov_b64 exec, s[20:21]                                   // 000000006E2C: BEFE0114
	global_atomic_add_f32 v6, v71, s[8:9] offset:8             // 000000006E30: DD348008 00084706
	s_mov_b64 exec, s[36:37]                                   // 000000006E38: BEFE0124
	ds_write_b64 v20, v[72:73]                                 // 000000006E3C: D89A0000 00004814
	ds_write_b64 v20, v[76:77] offset:2176                     // 000000006E44: D89A0880 00004C14
	ds_write_b64 v20, v[80:81] offset:4352                     // 000000006E4C: D89A1100 00005014
	ds_write_b64 v20, v[84:85] offset:6528                     // 000000006E54: D89A1980 00005414
	s_waitcnt lgkmcnt(0)                                       // 000000006E5C: BF8CC07F
	s_barrier                                                  // 000000006E60: BF8A0000
	ds_read_b32 v72, v21                                       // 000000006E64: D86C0000 48000015
	ds_read_b32 v73, v21 offset:64                             // 000000006E6C: D86C0040 49000015
	ds_read_b32 v76, v21 offset:2176                           // 000000006E74: D86C0880 4C000015
	ds_read_b32 v77, v21 offset:2240                           // 000000006E7C: D86C08C0 4D000015
	ds_read_b32 v80, v21 offset:4352                           // 000000006E84: D86C1100 50000015
	ds_read_b32 v81, v21 offset:4416                           // 000000006E8C: D86C1140 51000015
	ds_read_b32 v84, v21 offset:6528                           // 000000006E94: D86C1980 54000015
	ds_read_b32 v85, v21 offset:6592                           // 000000006E9C: D86C19C0 55000015
	s_mul_i32 s60, s65, 4                                      // 000000006EA4: 923C8441
	s_add_u32 s8, s60, s8                                      // 000000006EA8: 8008083C
	s_addc_u32 s9, 0, s9                                       // 000000006EAC: 82090980
	s_waitcnt lgkmcnt(0)                                       // 000000006EB0: BF8CC07F
	v_mov_b32_e32 v7, 0                                        // 000000006EB4: 7E0E0280
	s_mov_b64 exec, s[36:37]                                   // 000000006EB8: BEFE0124
	v_mov_b32_e32 v6, v44                                      // 000000006EBC: 7E0C032C
	s_mov_b64 s[60:61], 0                                      // 000000006EC0: BEBC0180
	v_readlane_b32 s82, v3, 0                                  // 000000006EC4: D2890052 00010103
	s_and_b32 s82, s82, 0xffffff                               // 000000006ECC: 8652FF52 00FFFFFF
	s_cmp_lt_u32 s82, s66                                      // 000000006ED4: BF0A4252
	s_cselect_b32 s20, s36, s60                                // 000000006ED8: 85143C24
	v_readlane_b32 s82, v3, 1                                  // 000000006EDC: D2890052 00010303
	s_and_b32 s82, s82, 0xffffff                               // 000000006EE4: 8652FF52 00FFFFFF
	s_cmp_lt_u32 s82, s66                                      // 000000006EEC: BF0A4252
	s_cselect_b32 s21, s36, s60                                // 000000006EF0: 85153C24
	s_mov_b64 exec, s[20:21]                                   // 000000006EF4: BEFE0114
	global_atomic_add_f32 v6, v72, s[8:9]                      // 000000006EF8: DD348000 00084806
	s_mov_b64 exec, s[36:37]                                   // 000000006F00: BEFE0124
	v_mov_b32_e32 v6, v45                                      // 000000006F04: 7E0C032D
	s_mov_b64 s[60:61], 0                                      // 000000006F08: BEBC0180
	v_readlane_b32 s82, v3, 2                                  // 000000006F0C: D2890052 00010503
	s_and_b32 s82, s82, 0xffffff                               // 000000006F14: 8652FF52 00FFFFFF
	s_cmp_lt_u32 s82, s66                                      // 000000006F1C: BF0A4252
	s_cselect_b32 s20, s36, s60                                // 000000006F20: 85143C24
	v_readlane_b32 s82, v3, 3                                  // 000000006F24: D2890052 00010703
	s_and_b32 s82, s82, 0xffffff                               // 000000006F2C: 8652FF52 00FFFFFF
	s_cmp_lt_u32 s82, s66                                      // 000000006F34: BF0A4252
	s_cselect_b32 s21, s36, s60                                // 000000006F38: 85153C24
	s_mov_b64 exec, s[20:21]                                   // 000000006F3C: BEFE0114
	global_atomic_add_f32 v6, v73, s[8:9]                      // 000000006F40: DD348000 00084906
	s_mov_b64 exec, s[36:37]                                   // 000000006F48: BEFE0124
	v_mov_b32_e32 v6, v46                                      // 000000006F4C: 7E0C032E
	s_mov_b64 s[60:61], 0                                      // 000000006F50: BEBC0180
	v_readlane_b32 s82, v3, 4                                  // 000000006F54: D2890052 00010903
	s_and_b32 s82, s82, 0xffffff                               // 000000006F5C: 8652FF52 00FFFFFF
	s_cmp_lt_u32 s82, s66                                      // 000000006F64: BF0A4252
	s_cselect_b32 s20, s36, s60                                // 000000006F68: 85143C24
	v_readlane_b32 s82, v3, 5                                  // 000000006F6C: D2890052 00010B03
	s_and_b32 s82, s82, 0xffffff                               // 000000006F74: 8652FF52 00FFFFFF
	s_cmp_lt_u32 s82, s66                                      // 000000006F7C: BF0A4252
	s_cselect_b32 s21, s36, s60                                // 000000006F80: 85153C24
	s_mov_b64 exec, s[20:21]                                   // 000000006F84: BEFE0114
	global_atomic_add_f32 v6, v76, s[8:9]                      // 000000006F88: DD348000 00084C06
	s_mov_b64 exec, s[36:37]                                   // 000000006F90: BEFE0124
	v_mov_b32_e32 v6, v47                                      // 000000006F94: 7E0C032F
	s_mov_b64 s[60:61], 0                                      // 000000006F98: BEBC0180
	v_readlane_b32 s82, v3, 6                                  // 000000006F9C: D2890052 00010D03
	s_and_b32 s82, s82, 0xffffff                               // 000000006FA4: 8652FF52 00FFFFFF
	s_cmp_lt_u32 s82, s66                                      // 000000006FAC: BF0A4252
	s_cselect_b32 s20, s36, s60                                // 000000006FB0: 85143C24
	v_readlane_b32 s82, v3, 7                                  // 000000006FB4: D2890052 00010F03
	s_and_b32 s82, s82, 0xffffff                               // 000000006FBC: 8652FF52 00FFFFFF
	s_cmp_lt_u32 s82, s66                                      // 000000006FC4: BF0A4252
	s_cselect_b32 s21, s36, s60                                // 000000006FC8: 85153C24
	s_mov_b64 exec, s[20:21]                                   // 000000006FCC: BEFE0114
	global_atomic_add_f32 v6, v77, s[8:9]                      // 000000006FD0: DD348000 00084D06
	s_mov_b64 exec, s[36:37]                                   // 000000006FD8: BEFE0124
	v_mov_b32_e32 v6, v48                                      // 000000006FDC: 7E0C0330
	s_mov_b64 s[60:61], 0                                      // 000000006FE0: BEBC0180
	v_readlane_b32 s82, v3, 8                                  // 000000006FE4: D2890052 00011103
	s_and_b32 s82, s82, 0xffffff                               // 000000006FEC: 8652FF52 00FFFFFF
	s_cmp_lt_u32 s82, s66                                      // 000000006FF4: BF0A4252
	s_cselect_b32 s20, s36, s60                                // 000000006FF8: 85143C24
	v_readlane_b32 s82, v3, 9                                  // 000000006FFC: D2890052 00011303
	s_and_b32 s82, s82, 0xffffff                               // 000000007004: 8652FF52 00FFFFFF
	s_cmp_lt_u32 s82, s66                                      // 00000000700C: BF0A4252
	s_cselect_b32 s21, s36, s60                                // 000000007010: 85153C24
	s_mov_b64 exec, s[20:21]                                   // 000000007014: BEFE0114
	global_atomic_add_f32 v6, v80, s[8:9]                      // 000000007018: DD348000 00085006
	s_mov_b64 exec, s[36:37]                                   // 000000007020: BEFE0124
	v_mov_b32_e32 v6, v49                                      // 000000007024: 7E0C0331
	s_mov_b64 s[60:61], 0                                      // 000000007028: BEBC0180
	v_readlane_b32 s82, v3, 10                                 // 00000000702C: D2890052 00011503
	s_and_b32 s82, s82, 0xffffff                               // 000000007034: 8652FF52 00FFFFFF
	s_cmp_lt_u32 s82, s66                                      // 00000000703C: BF0A4252
	s_cselect_b32 s20, s36, s60                                // 000000007040: 85143C24
	v_readlane_b32 s82, v3, 11                                 // 000000007044: D2890052 00011703
	s_and_b32 s82, s82, 0xffffff                               // 00000000704C: 8652FF52 00FFFFFF
	s_cmp_lt_u32 s82, s66                                      // 000000007054: BF0A4252
	s_cselect_b32 s21, s36, s60                                // 000000007058: 85153C24
	s_mov_b64 exec, s[20:21]                                   // 00000000705C: BEFE0114
	global_atomic_add_f32 v6, v81, s[8:9]                      // 000000007060: DD348000 00085106
	s_mov_b64 exec, s[36:37]                                   // 000000007068: BEFE0124
	v_mov_b32_e32 v6, v50                                      // 00000000706C: 7E0C0332
	s_mov_b64 s[60:61], 0                                      // 000000007070: BEBC0180
	v_readlane_b32 s82, v3, 12                                 // 000000007074: D2890052 00011903
	s_and_b32 s82, s82, 0xffffff                               // 00000000707C: 8652FF52 00FFFFFF
	s_cmp_lt_u32 s82, s66                                      // 000000007084: BF0A4252
	s_cselect_b32 s20, s36, s60                                // 000000007088: 85143C24
	v_readlane_b32 s82, v3, 13                                 // 00000000708C: D2890052 00011B03
	s_and_b32 s82, s82, 0xffffff                               // 000000007094: 8652FF52 00FFFFFF
	s_cmp_lt_u32 s82, s66                                      // 00000000709C: BF0A4252
	s_cselect_b32 s21, s36, s60                                // 0000000070A0: 85153C24
	s_mov_b64 exec, s[20:21]                                   // 0000000070A4: BEFE0114
	global_atomic_add_f32 v6, v84, s[8:9]                      // 0000000070A8: DD348000 00085406
	s_mov_b64 exec, s[36:37]                                   // 0000000070B0: BEFE0124
	v_mov_b32_e32 v6, v51                                      // 0000000070B4: 7E0C0333
	s_mov_b64 s[60:61], 0                                      // 0000000070B8: BEBC0180
	v_readlane_b32 s82, v3, 14                                 // 0000000070BC: D2890052 00011D03
	s_and_b32 s82, s82, 0xffffff                               // 0000000070C4: 8652FF52 00FFFFFF
	s_cmp_lt_u32 s82, s66                                      // 0000000070CC: BF0A4252
	s_cselect_b32 s20, s36, s60                                // 0000000070D0: 85143C24
	v_readlane_b32 s82, v3, 15                                 // 0000000070D4: D2890052 00011F03
	s_and_b32 s82, s82, 0xffffff                               // 0000000070DC: 8652FF52 00FFFFFF
	s_cmp_lt_u32 s82, s66                                      // 0000000070E4: BF0A4252
	s_cselect_b32 s21, s36, s60                                // 0000000070E8: 85153C24
	s_mov_b64 exec, s[20:21]                                   // 0000000070EC: BEFE0114
	global_atomic_add_f32 v6, v85, s[8:9]                      // 0000000070F0: DD348000 00085506
	s_mov_b64 exec, s[36:37]                                   // 0000000070F8: BEFE0124
	ds_write_b64 v20, v[74:75]                                 // 0000000070FC: D89A0000 00004A14
	ds_write_b64 v20, v[78:79] offset:2176                     // 000000007104: D89A0880 00004E14
	ds_write_b64 v20, v[82:83] offset:4352                     // 00000000710C: D89A1100 00005214
	ds_write_b64 v20, v[86:87] offset:6528                     // 000000007114: D89A1980 00005614
	s_waitcnt lgkmcnt(0)                                       // 00000000711C: BF8CC07F
	s_barrier                                                  // 000000007120: BF8A0000
	ds_read_b32 v74, v21                                       // 000000007124: D86C0000 4A000015
	ds_read_b32 v75, v21 offset:64                             // 00000000712C: D86C0040 4B000015
	ds_read_b32 v78, v21 offset:2176                           // 000000007134: D86C0880 4E000015
	ds_read_b32 v79, v21 offset:2240                           // 00000000713C: D86C08C0 4F000015
	ds_read_b32 v82, v21 offset:4352                           // 000000007144: D86C1100 52000015
	ds_read_b32 v83, v21 offset:4416                           // 00000000714C: D86C1140 53000015
	ds_read_b32 v86, v21 offset:6528                           // 000000007154: D86C1980 56000015
	ds_read_b32 v87, v21 offset:6592                           // 00000000715C: D86C19C0 57000015
	s_waitcnt lgkmcnt(0)                                       // 000000007164: BF8CC07F
	v_mov_b32_e32 v7, 0                                        // 000000007168: 7E0E0280
	s_mov_b64 exec, s[36:37]                                   // 00000000716C: BEFE0124
	v_mov_b32_e32 v6, v44                                      // 000000007170: 7E0C032C
	s_mov_b64 s[60:61], 0                                      // 000000007174: BEBC0180
	v_readlane_b32 s82, v3, 0                                  // 000000007178: D2890052 00010103
	s_and_b32 s82, s82, 0xffffff                               // 000000007180: 8652FF52 00FFFFFF
	s_cmp_lt_u32 s82, s66                                      // 000000007188: BF0A4252
	s_cselect_b32 s20, s36, s60                                // 00000000718C: 85143C24
	v_readlane_b32 s82, v3, 1                                  // 000000007190: D2890052 00010303
	s_and_b32 s82, s82, 0xffffff                               // 000000007198: 8652FF52 00FFFFFF
	s_cmp_lt_u32 s82, s66                                      // 0000000071A0: BF0A4252
	s_cselect_b32 s21, s36, s60                                // 0000000071A4: 85153C24
	s_mov_b64 exec, s[20:21]                                   // 0000000071A8: BEFE0114
	global_atomic_add_f32 v6, v74, s[8:9] offset:8             // 0000000071AC: DD348008 00084A06
	s_mov_b64 exec, s[36:37]                                   // 0000000071B4: BEFE0124
	v_mov_b32_e32 v6, v45                                      // 0000000071B8: 7E0C032D
	s_mov_b64 s[60:61], 0                                      // 0000000071BC: BEBC0180
	v_readlane_b32 s82, v3, 2                                  // 0000000071C0: D2890052 00010503
	s_and_b32 s82, s82, 0xffffff                               // 0000000071C8: 8652FF52 00FFFFFF
	s_cmp_lt_u32 s82, s66                                      // 0000000071D0: BF0A4252
	s_cselect_b32 s20, s36, s60                                // 0000000071D4: 85143C24
	v_readlane_b32 s82, v3, 3                                  // 0000000071D8: D2890052 00010703
	s_and_b32 s82, s82, 0xffffff                               // 0000000071E0: 8652FF52 00FFFFFF
	s_cmp_lt_u32 s82, s66                                      // 0000000071E8: BF0A4252
	s_cselect_b32 s21, s36, s60                                // 0000000071EC: 85153C24
	s_mov_b64 exec, s[20:21]                                   // 0000000071F0: BEFE0114
	global_atomic_add_f32 v6, v75, s[8:9] offset:8             // 0000000071F4: DD348008 00084B06
	s_mov_b64 exec, s[36:37]                                   // 0000000071FC: BEFE0124
	v_mov_b32_e32 v6, v46                                      // 000000007200: 7E0C032E
	s_mov_b64 s[60:61], 0                                      // 000000007204: BEBC0180
	v_readlane_b32 s82, v3, 4                                  // 000000007208: D2890052 00010903
	s_and_b32 s82, s82, 0xffffff                               // 000000007210: 8652FF52 00FFFFFF
	s_cmp_lt_u32 s82, s66                                      // 000000007218: BF0A4252
	s_cselect_b32 s20, s36, s60                                // 00000000721C: 85143C24
	v_readlane_b32 s82, v3, 5                                  // 000000007220: D2890052 00010B03
	s_and_b32 s82, s82, 0xffffff                               // 000000007228: 8652FF52 00FFFFFF
	s_cmp_lt_u32 s82, s66                                      // 000000007230: BF0A4252
	s_cselect_b32 s21, s36, s60                                // 000000007234: 85153C24
	s_mov_b64 exec, s[20:21]                                   // 000000007238: BEFE0114
	global_atomic_add_f32 v6, v78, s[8:9] offset:8             // 00000000723C: DD348008 00084E06
	s_mov_b64 exec, s[36:37]                                   // 000000007244: BEFE0124
	v_mov_b32_e32 v6, v47                                      // 000000007248: 7E0C032F
	s_mov_b64 s[60:61], 0                                      // 00000000724C: BEBC0180
	v_readlane_b32 s82, v3, 6                                  // 000000007250: D2890052 00010D03
	s_and_b32 s82, s82, 0xffffff                               // 000000007258: 8652FF52 00FFFFFF
	s_cmp_lt_u32 s82, s66                                      // 000000007260: BF0A4252
	s_cselect_b32 s20, s36, s60                                // 000000007264: 85143C24
	v_readlane_b32 s82, v3, 7                                  // 000000007268: D2890052 00010F03
	s_and_b32 s82, s82, 0xffffff                               // 000000007270: 8652FF52 00FFFFFF
	s_cmp_lt_u32 s82, s66                                      // 000000007278: BF0A4252
	s_cselect_b32 s21, s36, s60                                // 00000000727C: 85153C24
	s_mov_b64 exec, s[20:21]                                   // 000000007280: BEFE0114
	global_atomic_add_f32 v6, v79, s[8:9] offset:8             // 000000007284: DD348008 00084F06
	s_mov_b64 exec, s[36:37]                                   // 00000000728C: BEFE0124
	v_mov_b32_e32 v6, v48                                      // 000000007290: 7E0C0330
	s_mov_b64 s[60:61], 0                                      // 000000007294: BEBC0180
	v_readlane_b32 s82, v3, 8                                  // 000000007298: D2890052 00011103
	s_and_b32 s82, s82, 0xffffff                               // 0000000072A0: 8652FF52 00FFFFFF
	s_cmp_lt_u32 s82, s66                                      // 0000000072A8: BF0A4252
	s_cselect_b32 s20, s36, s60                                // 0000000072AC: 85143C24
	v_readlane_b32 s82, v3, 9                                  // 0000000072B0: D2890052 00011303
	s_and_b32 s82, s82, 0xffffff                               // 0000000072B8: 8652FF52 00FFFFFF
	s_cmp_lt_u32 s82, s66                                      // 0000000072C0: BF0A4252
	s_cselect_b32 s21, s36, s60                                // 0000000072C4: 85153C24
	s_mov_b64 exec, s[20:21]                                   // 0000000072C8: BEFE0114
	global_atomic_add_f32 v6, v82, s[8:9] offset:8             // 0000000072CC: DD348008 00085206
	s_mov_b64 exec, s[36:37]                                   // 0000000072D4: BEFE0124
	v_mov_b32_e32 v6, v49                                      // 0000000072D8: 7E0C0331
	s_mov_b64 s[60:61], 0                                      // 0000000072DC: BEBC0180
	v_readlane_b32 s82, v3, 10                                 // 0000000072E0: D2890052 00011503
	s_and_b32 s82, s82, 0xffffff                               // 0000000072E8: 8652FF52 00FFFFFF
	s_cmp_lt_u32 s82, s66                                      // 0000000072F0: BF0A4252
	s_cselect_b32 s20, s36, s60                                // 0000000072F4: 85143C24
	v_readlane_b32 s82, v3, 11                                 // 0000000072F8: D2890052 00011703
	s_and_b32 s82, s82, 0xffffff                               // 000000007300: 8652FF52 00FFFFFF
	s_cmp_lt_u32 s82, s66                                      // 000000007308: BF0A4252
	s_cselect_b32 s21, s36, s60                                // 00000000730C: 85153C24
	s_mov_b64 exec, s[20:21]                                   // 000000007310: BEFE0114
	global_atomic_add_f32 v6, v83, s[8:9] offset:8             // 000000007314: DD348008 00085306
	s_mov_b64 exec, s[36:37]                                   // 00000000731C: BEFE0124
	v_mov_b32_e32 v6, v50                                      // 000000007320: 7E0C0332
	s_mov_b64 s[60:61], 0                                      // 000000007324: BEBC0180
	v_readlane_b32 s82, v3, 12                                 // 000000007328: D2890052 00011903
	s_and_b32 s82, s82, 0xffffff                               // 000000007330: 8652FF52 00FFFFFF
	s_cmp_lt_u32 s82, s66                                      // 000000007338: BF0A4252
	s_cselect_b32 s20, s36, s60                                // 00000000733C: 85143C24
	v_readlane_b32 s82, v3, 13                                 // 000000007340: D2890052 00011B03
	s_and_b32 s82, s82, 0xffffff                               // 000000007348: 8652FF52 00FFFFFF
	s_cmp_lt_u32 s82, s66                                      // 000000007350: BF0A4252
	s_cselect_b32 s21, s36, s60                                // 000000007354: 85153C24
	s_mov_b64 exec, s[20:21]                                   // 000000007358: BEFE0114
	global_atomic_add_f32 v6, v86, s[8:9] offset:8             // 00000000735C: DD348008 00085606
	s_mov_b64 exec, s[36:37]                                   // 000000007364: BEFE0124
	v_mov_b32_e32 v6, v51                                      // 000000007368: 7E0C0333
	s_mov_b64 s[60:61], 0                                      // 00000000736C: BEBC0180
	v_readlane_b32 s82, v3, 14                                 // 000000007370: D2890052 00011D03
	s_and_b32 s82, s82, 0xffffff                               // 000000007378: 8652FF52 00FFFFFF
	s_cmp_lt_u32 s82, s66                                      // 000000007380: BF0A4252
	s_cselect_b32 s20, s36, s60                                // 000000007384: 85143C24
	v_readlane_b32 s82, v3, 15                                 // 000000007388: D2890052 00011F03
	s_and_b32 s82, s82, 0xffffff                               // 000000007390: 8652FF52 00FFFFFF
	s_cmp_lt_u32 s82, s66                                      // 000000007398: BF0A4252
	s_cselect_b32 s21, s36, s60                                // 00000000739C: 85153C24
	s_mov_b64 exec, s[20:21]                                   // 0000000073A0: BEFE0114
	global_atomic_add_f32 v6, v87, s[8:9] offset:8             // 0000000073A4: DD348008 00085706
	s_mov_b64 exec, s[36:37]                                   // 0000000073AC: BEFE0124
	s_branch label_1270                                        // 0000000073B0: BF820000

00000000000073b4 <label_1270>:
	s_waitcnt vmcnt(0) expcnt(0) lgkmcnt(0)                    // 0000000073B4: BF8C0000
	s_endpgm                                                   // 0000000073B8: BF810000
